;; amdgpu-corpus repo=ROCm/aiter kind=harvested arch=n/a opt=n/a

/root/src/amdgpu-assembly/repos/ROCm__aiter/hsa/gfx942/fmha_v3_bwd/bwd_hd64_bf16_causal_br_a32_rtna_pssk.co:	file format elf64-amdgpu

Disassembly of section .text:

0000000000003e00 <_ZN5aiter42fmha_bwd_hd64_bf16_causal_br_a32_rtna_psskE>:
	s_and_b32 s1, s1, 0xffff                                   // 000000003E00: 8601FF01 0000FFFF
	s_load_dwordx2 s[32:33], s[0:1], 0x0                       // 000000003E08: C0060800 00000000
	s_load_dwordx2 s[36:37], s[0:1], 0x10                      // 000000003E10: C0060900 00000010
	s_load_dwordx2 s[40:41], s[0:1], 0x20                      // 000000003E18: C0060A00 00000020
	s_load_dwordx2 s[8:9], s[0:1], 0x30                        // 000000003E20: C0060200 00000030
	s_load_dwordx2 s[12:13], s[0:1], 0x40                      // 000000003E28: C0060300 00000040
	s_load_dwordx2 s[16:17], s[0:1], 0x50                      // 000000003E30: C0060400 00000050
	s_load_dwordx2 s[20:21], s[0:1], 0x60                      // 000000003E38: C0060500 00000060
	s_load_dwordx2 s[24:25], s[0:1], 0x70                      // 000000003E40: C0060600 00000070
	s_load_dwordx2 s[28:29], s[0:1], 0x80                      // 000000003E48: C0060700 00000080
	s_load_dword s47, s[0:1], 0x90                             // 000000003E50: C0020BC0 00000090
	s_load_dword s48, s[0:1], 0xa0                             // 000000003E58: C0020C00 000000A0
	s_load_dword s49, s[0:1], 0xb0                             // 000000003E60: C0020C40 000000B0
	s_load_dword s78, s[0:1], 0xd0                             // 000000003E68: C0021380 000000D0
	s_load_dword s79, s[0:1], 0xe0                             // 000000003E70: C00213C0 000000E0
	s_load_dword s5, s[0:1], 0xf0                              // 000000003E78: C0020140 000000F0
	s_load_dword s44, s[0:1], 0x100                            // 000000003E80: C0020B00 00000100
	s_load_dword s80, s[0:1], 0x110                            // 000000003E88: C0021400 00000110
	s_load_dword s81, s[0:1], 0x120                            // 000000003E90: C0021440 00000120
	s_load_dword s6, s[0:1], 0x130                             // 000000003E98: C0020180 00000130
	s_load_dword s52, s[0:1], 0x140                            // 000000003EA0: C0020D00 00000140
	s_load_dword s50, s[0:1], 0x150                            // 000000003EA8: C0020C80 00000150
	s_load_dword s98, s[0:1], 0x160                            // 000000003EB0: C0021880 00000160
	s_load_dword s100, s[0:1], 0x180                           // 000000003EB8: C0021900 00000180
	s_load_dword s90, s[0:1], 0x190                            // 000000003EC0: C0021680 00000190
	s_load_dword s91, s[0:1], 0x1a0                            // 000000003EC8: C00216C0 000001A0
	s_load_dword s7, s[0:1], 0x1b0                             // 000000003ED0: C00201C0 000001B0
	s_load_dword s92, s[0:1], 0x1c0                            // 000000003ED8: C0021700 000001C0
	s_load_dword s93, s[0:1], 0x1d0                            // 000000003EE0: C0021740 000001D0
	s_load_dword s51, s[0:1], 0x1e0                            // 000000003EE8: C0020CC0 000001E0
	s_load_dword s94, s[0:1], 0x1f0                            // 000000003EF0: C0021780 000001F0
	s_load_dword s95, s[0:1], 0x200                            // 000000003EF8: C00217C0 00000200
	s_load_dword s96, s[0:1], 0x210                            // 000000003F00: C0021800 00000210
	s_load_dword s97, s[0:1], 0x220                            // 000000003F08: C0021840 00000220
	s_load_dword s53, s[0:1], 0x230                            // 000000003F10: C0020D40 00000230
	v_lshrrev_b32_e32 v1, 10, v0                               // 000000003F18: 2002008A
	v_lshrrev_b32_e32 v2, 10, v1                               // 000000003F1C: 2004028A
	v_and_b32_e32 v2, 0x3ff, v2                                // 000000003F20: 260404FF 000003FF
	v_and_b32_e32 v1, 0x3ff, v1                                // 000000003F28: 260202FF 000003FF
	v_and_b32_e32 v0, 0x3ff, v0                                // 000000003F30: 260000FF 000003FF
	v_lshrrev_b32_e32 v3, 6, v0                                // 000000003F38: 20060086
	v_and_b32_e32 v0, 63, v0                                   // 000000003F3C: 260000BF
	s_mov_b32 s2, s2                                           // 000000003F40: BE820002
	s_mov_b32 s3, s3                                           // 000000003F44: BE830003
	s_mov_b32 s4, s4                                           // 000000003F48: BE840004
	v_readfirstlane_b32 s46, v3                                // 000000003F4C: 7E5C0503
	s_waitcnt lgkmcnt(0)                                       // 000000003F50: BF8CC07F
	s_mov_b32 s11, 0x20000                                     // 000000003F54: BE8B00FF 00020000
	s_mov_b32 s15, 0x20000                                     // 000000003F5C: BE8F00FF 00020000
	s_mov_b32 s19, 0x20000                                     // 000000003F64: BE9300FF 00020000
	s_mov_b32 s23, 0x20000                                     // 000000003F6C: BE9700FF 00020000
	s_mov_b32 s27, 0x20000                                     // 000000003F74: BE9B00FF 00020000
	s_mov_b32 s31, 0x20000                                     // 000000003F7C: BE9F00FF 00020000
	s_mov_b32 s35, 0x20000                                     // 000000003F84: BEA300FF 00020000
	s_mov_b32 s39, 0x20000                                     // 000000003F8C: BEA700FF 00020000
	s_mov_b32 s43, 0x20000                                     // 000000003F94: BEAB00FF 00020000
	s_and_b32 s9, s9, 0xffff                                   // 000000003F9C: 8609FF09 0000FFFF
	s_and_b32 s13, s13, 0xffff                                 // 000000003FA4: 860DFF0D 0000FFFF
	s_and_b32 s17, s17, 0xffff                                 // 000000003FAC: 8611FF11 0000FFFF
	s_and_b32 s21, s21, 0xffff                                 // 000000003FB4: 8615FF15 0000FFFF
	s_and_b32 s25, s25, 0xffff                                 // 000000003FBC: 8619FF19 0000FFFF
	s_and_b32 s29, s29, 0xffff                                 // 000000003FC4: 861DFF1D 0000FFFF
	s_and_b32 s33, s33, 0xffff                                 // 000000003FCC: 8621FF21 0000FFFF
	s_and_b32 s37, s37, 0xffff                                 // 000000003FD4: 8625FF25 0000FFFF
	s_and_b32 s41, s41, 0xffff                                 // 000000003FDC: 8629FF29 0000FFFF
	s_or_b32 s9, s9, 0x40000                                   // 000000003FE4: 8709FF09 00040000
	s_or_b32 s13, s13, 0x40000                                 // 000000003FEC: 870DFF0D 00040000
	s_or_b32 s17, s17, 0x40000                                 // 000000003FF4: 8711FF11 00040000
	s_or_b32 s21, s21, 0x40000                                 // 000000003FFC: 8715FF15 00040000
	s_or_b32 s25, s25, 0x40000                                 // 000000004004: 8719FF19 00040000
	s_or_b32 s29, s29, 0x40000                                 // 00000000400C: 871DFF1D 00040000
	s_or_b32 s33, s33, 0x40000                                 // 000000004014: 8721FF21 00040000
	s_or_b32 s37, s37, 0x40000                                 // 00000000401C: 8725FF25 00040000
	s_or_b32 s41, s41, 0x40000                                 // 000000004024: 8729FF29 00040000
	v_accvgpr_write_b32 a159, 0                                // 00000000402C: D3D9409F 18000080
	v_mov_b32_e32 v236, 0                                      // 000000004034: 7FD80280
	s_mov_b32 s71, s3                                          // 000000004038: BEC70003
	v_cvt_f32_u32_e32 v32, s44                                 // 00000000403C: 7E400C2C
	s_sub_i32 s60, 0, s44                                      // 000000004040: 81BC2C80
	v_rcp_iflag_f32_e32 v32, v32                               // 000000004044: 7E404720
	s_nop 0                                                    // 000000004048: BF800000
	v_mul_f32_e32 v32, 0x4f7ffffe, v32                         // 00000000404C: 0A4040FF 4F7FFFFE
	v_cvt_u32_f32_e32 v32, v32                                 // 000000004054: 7E400F20
	v_mul_lo_u32 v33, s60, v32                                 // 000000004058: D2850021 0002403C
	v_mul_hi_u32 v33, v32, v33                                 // 000000004060: D2860021 00024320
	v_add_u32_e32 v32, v32, v33                                // 000000004068: 68404320
	v_mul_hi_u32 v32, s71, v32                                 // 00000000406C: D2860020 00024047
	v_mul_lo_u32 v33, v32, s44                                 // 000000004074: D2850021 00005920
	v_sub_u32_e32 v35, s71, v33                                // 00000000407C: 6A464247
	v_add_u32_e32 v34, 1, v32                                  // 000000004080: 68444081
	v_cmp_le_u32_e32 vcc, s44, v35                             // 000000004084: 7D96462C
	v_subrev_u32_e32 v33, s44, v35                             // 000000004088: 6C42462C
	s_nop 0                                                    // 00000000408C: BF800000
	v_cndmask_b32_e32 v32, v32, v34, vcc                       // 000000004090: 00404520
	v_cndmask_b32_e32 v35, v35, v33, vcc                       // 000000004094: 00464323
	v_add_u32_e32 v33, 1, v32                                  // 000000004098: 68424081
	v_cmp_le_u32_e32 vcc, s44, v35                             // 00000000409C: 7D96462C
	s_nop 1                                                    // 0000000040A0: BF800001
	v_cndmask_b32_e32 v35, v32, v33, vcc                       // 0000000040A4: 00464320
	s_nop 3                                                    // 0000000040A8: BF800003
	v_readfirstlane_b32 s45, v35                               // 0000000040AC: 7E5A0523
	s_nop 3                                                    // 0000000040B0: BF800003
	s_mul_i32 s61, s45, s80                                    // 0000000040B4: 923D502D
	s_mov_b32 s54, s61                                         // 0000000040B8: BEB6003D
	s_add_u32 s12, s54, s12                                    // 0000000040BC: 800C0C36
	s_addc_u32 s13, 0, s13                                     // 0000000040C0: 820D0D80
	s_mul_i32 s60, s4, s81                                     // 0000000040C4: 923C5104
	s_mul_hi_u32 s61, s4, s81                                  // 0000000040C8: 963D5104
	s_and_b32 s61, s61, 0xffff                                 // 0000000040CC: 863DFF3D 0000FFFF
	s_add_u32 s12, s12, s60                                    // 0000000040D4: 800C3C0C
	s_addc_u32 s13, s13, s61                                   // 0000000040D8: 820D3D0D
	s_mul_i32 s61, s45, s90                                    // 0000000040DC: 923D5A2D
	s_mov_b32 s54, s61                                         // 0000000040E0: BEB6003D
	s_add_u32 s16, s54, s16                                    // 0000000040E4: 80101036
	s_addc_u32 s17, 0, s17                                     // 0000000040E8: 82111180
	s_mul_i32 s60, s4, s91                                     // 0000000040EC: 923C5B04
	s_mul_hi_u32 s61, s4, s91                                  // 0000000040F0: 963D5B04
	s_and_b32 s61, s61, 0xffff                                 // 0000000040F4: 863DFF3D 0000FFFF
	s_add_u32 s16, s16, s60                                    // 0000000040FC: 80103C10
	s_addc_u32 s17, s17, s61                                   // 000000004100: 82113D11
	s_mul_i32 s61, s3, s78                                     // 000000004104: 923D4E03
	s_mov_b32 s55, s61                                         // 000000004108: BEB7003D
	s_add_u32 s8, s55, s8                                      // 00000000410C: 80080837
	s_addc_u32 s9, 0, s9                                       // 000000004110: 82090980
	s_mul_i32 s60, s4, s79                                     // 000000004114: 923C4F04
	s_mul_hi_u32 s61, s4, s79                                  // 000000004118: 963D4F04
	s_and_b32 s61, s61, 0xffff                                 // 00000000411C: 863DFF3D 0000FFFF
	s_add_u32 s8, s8, s60                                      // 000000004124: 80083C08
	s_addc_u32 s9, s9, s61                                     // 000000004128: 82093D09
	s_mul_i32 s61, s3, s92                                     // 00000000412C: 923D5C03
	s_mov_b32 s56, s61                                         // 000000004130: BEB8003D
	s_add_u32 s20, s56, s20                                    // 000000004134: 80141438
	s_addc_u32 s21, 0, s21                                     // 000000004138: 82151580
	s_mul_i32 s60, s4, s93                                     // 00000000413C: 923C5D04
	s_mul_hi_u32 s61, s4, s93                                  // 000000004140: 963D5D04
	s_and_b32 s61, s61, 0xffff                                 // 000000004144: 863DFF3D 0000FFFF
	s_add_u32 s20, s20, s60                                    // 00000000414C: 80143C14
	s_addc_u32 s21, s21, s61                                   // 000000004150: 82153D15
	s_mul_i32 s62, s4, s100                                    // 000000004154: 923E6404
	s_mul_i32 s62, s62, s49                                    // 000000004158: 923E313E
	s_lshl_b32 s62, s62, 2                                     // 00000000415C: 8E3E823E
	s_mul_i32 s61, s3, s49                                     // 000000004160: 923D3103
	s_mul_i32 s61, 4, s61                                      // 000000004164: 923D3D84
	s_add_u32 s65, s61, s62                                    // 000000004168: 80413E3D
	s_mov_b32 s26, s49                                         // 00000000416C: BE9A0031
	s_mov_b32 s30, s49                                         // 000000004170: BE9E0031
	s_add_u32 s24, s65, s24                                    // 000000004174: 80181841
	s_addc_u32 s25, 0, s25                                     // 000000004178: 82191980
	s_add_u32 s28, s65, s28                                    // 00000000417C: 801C1C41
	s_addc_u32 s29, 0, s29                                     // 000000004180: 821D1D80
	s_mul_i32 s61, s3, s94                                     // 000000004184: 923D5E03
	s_mul_i32 s62, s4, s95                                     // 000000004188: 923E5F04
	s_add_u32 s60, s61, s62                                    // 00000000418C: 803C3E3D
	s_mul_hi_u32 s61, s4, s95                                  // 000000004190: 963D5F04
	s_and_b32 s61, s61, 0xffff                                 // 000000004194: 863DFF3D 0000FFFF
	s_add_u32 s36, s60, s36                                    // 00000000419C: 8024243C
	s_addc_u32 s37, s61, s37                                   // 0000000041A0: 8225253D
	s_mul_i32 s60, s50, s52                                    // 0000000041A4: 923C3432
	s_lshr_b32 s60, s60, 2                                     // 0000000041A8: 8F3C823C
	s_mov_b32 s38, s60                                         // 0000000041AC: BEA6003C
	s_mul_i32 s61, s3, s96                                     // 0000000041B0: 923D6003
	s_mul_i32 s62, s4, s97                                     // 0000000041B4: 923E6104
	s_add_u32 s60, s61, s62                                    // 0000000041B8: 803C3E3D
	s_mul_hi_u32 s61, s4, s97                                  // 0000000041BC: 963D6104
	s_and_b32 s61, s61, 0xffff                                 // 0000000041C0: 863DFF3D 0000FFFF
	s_add_u32 s40, s60, s40                                    // 0000000041C8: 8028283C
	s_addc_u32 s41, s61, s41                                   // 0000000041CC: 8229293D
	s_mul_i32 s60, s50, s53                                    // 0000000041D0: 923C3532
	s_lshr_b32 s60, s60, 2                                     // 0000000041D4: 8F3C823C
	s_mov_b32 s42, s60                                         // 0000000041D8: BEAA003C
	s_mul_i32 s60, 64, s65                                     // 0000000041DC: 923C41C0
	s_mul_hi_u32 s61, 64, s65                                  // 0000000041E0: 963D41C0
	s_and_b32 s61, s61, 0xffff                                 // 0000000041E4: 863DFF3D 0000FFFF
	s_add_u32 s32, s60, s32                                    // 0000000041EC: 8020203C
	s_addc_u32 s33, s61, s33                                   // 0000000041F0: 8221213D
	s_mul_i32 s60, 64, s49                                     // 0000000041F4: 923C31C0
	s_mov_b32 s34, s60                                         // 0000000041F8: BEA2003C
	s_mov_b32 s82, s8                                          // 0000000041FC: BED20008
	s_mov_b32 s84, s12                                         // 000000004200: BED4000C
	s_mov_b32 s86, s16                                         // 000000004204: BED60010
	s_mov_b32 s88, s20                                         // 000000004208: BED80014
	s_mov_b32 s83, s9                                          // 00000000420C: BED30009
	s_mov_b32 s85, s13                                         // 000000004210: BED5000D
	s_mov_b32 s87, s17                                         // 000000004214: BED70011
	s_mov_b32 s89, s21                                         // 000000004218: BED90015
	s_add_u32 s71, 0xbf, s50                                   // 00000000421C: 804732FF 000000BF
	s_mov_b32 s74, 0xc0                                        // 000000004224: BECA00FF 000000C0
	v_cvt_f32_u32_e32 v32, s74                                 // 00000000422C: 7E400C4A
	s_sub_i32 s60, 0, s74                                      // 000000004230: 81BC4A80
	v_rcp_iflag_f32_e32 v32, v32                               // 000000004234: 7E404720
	s_nop 0                                                    // 000000004238: BF800000
	v_mul_f32_e32 v32, 0x4f7ffffe, v32                         // 00000000423C: 0A4040FF 4F7FFFFE
	v_cvt_u32_f32_e32 v32, v32                                 // 000000004244: 7E400F20
	v_mul_lo_u32 v33, s60, v32                                 // 000000004248: D2850021 0002403C
	v_mul_hi_u32 v33, v32, v33                                 // 000000004250: D2860021 00024320
	v_add_u32_e32 v32, v32, v33                                // 000000004258: 68404320
	v_mul_hi_u32 v32, s71, v32                                 // 00000000425C: D2860020 00024047
	v_mul_lo_u32 v33, v32, s74                                 // 000000004264: D2850021 00009520
	v_sub_u32_e32 v35, s71, v33                                // 00000000426C: 6A464247
	v_add_u32_e32 v34, 1, v32                                  // 000000004270: 68444081
	v_cmp_le_u32_e32 vcc, s74, v35                             // 000000004274: 7D96464A
	v_subrev_u32_e32 v33, s74, v35                             // 000000004278: 6C42464A
	s_nop 0                                                    // 00000000427C: BF800000
	v_cndmask_b32_e32 v32, v32, v34, vcc                       // 000000004280: 00404520
	v_cndmask_b32_e32 v35, v35, v33, vcc                       // 000000004284: 00464323
	v_add_u32_e32 v33, 1, v32                                  // 000000004288: 68424081
	v_cmp_le_u32_e32 vcc, s74, v35                             // 00000000428C: 7D96464A
	s_nop 1                                                    // 000000004290: BF800001
	v_cndmask_b32_e32 v35, v32, v33, vcc                       // 000000004294: 00464320
	s_nop 3                                                    // 000000004298: BF800003
	v_readfirstlane_b32 s77, v35                               // 00000000429C: 7E9A0523
	s_nop 3                                                    // 0000000042A0: BF800003
	v_mov_b32_e32 v32, s47                                     // 0000000042A4: 7E40022F
	v_mul_f32_e32 v32, s48, v32                                // 0000000042A8: 0A404030
	s_mov_b32 s58, s49                                         // 0000000042AC: BEBA0031
	s_mov_b32 s59, 0                                           // 0000000042B0: BEBB0080
	s_mov_b32 s63, 0x5040100                                   // 0000000042B4: BEBF00FF 05040100
	s_mov_b32 s64, 0x7060302                                   // 0000000042BC: BEC000FF 07060302
	v_readfirstlane_b32 s57, v32                               // 0000000042C4: 7E720520
	v_mov_b32_e32 v34, 0x3020706                               // 0000000042C8: 7E4402FF 03020706
	v_mov_b32_e32 v32, s63                                     // 0000000042D0: 7E40023F
	v_and_b32_e32 v33, 1, v0                                   // 0000000042D4: 26420081
	v_cmp_eq_u32_e32 vcc, 1, v33                               // 0000000042D8: 7D944281
	s_mov_b32 s67, 0x800                                       // 0000000042DC: BEC300FF 00000800
	s_nop 0                                                    // 0000000042E4: BF800000
	v_cndmask_b32_e32 v17, v32, v34, vcc                       // 0000000042E8: 00224520
	v_mov_b32_e32 v229, 0xffff0000                             // 0000000042EC: 7FCA02FF FFFF0000
	v_mov_b32_e32 v230, 0x7fff0000                             // 0000000042F4: 7FCC02FF 7FFF0000
	v_mov_b32_e32 v231, 0x7fff                                 // 0000000042FC: 7FCE02FF 00007FFF
	s_cmp_lt_u32 s46, 2                                        // 000000004304: BF0A822E
	s_cselect_b32 s24, s24, s28                                // 000000004308: 85181C18
	s_cselect_b32 s25, s25, s29                                // 00000000430C: 85191D19
	s_cselect_b32 s26, s26, s30                                // 000000004310: 851A1E1A
	s_cselect_b32 s27, s27, s31                                // 000000004314: 851B1F1B
	s_lshr_b32 s60, s46, 1                                     // 000000004318: 8F3C812E
	s_lshl_b32 s60, s60, 8                                     // 00000000431C: 8E3C883C
	s_add_u32 s80, 0x9a00, s60                                 // 000000004320: 80503CFF 00009A00
	s_add_u32 s81, 0x200, s80                                  // 000000004328: 805150FF 00000200
	s_mov_b32 m0, s80                                          // 000000004330: BEFC0050
	s_mov_b32 s75, 0                                           // 000000004334: BECB0080
	s_mov_b32 s76, 1                                           // 000000004338: BECC0081
	s_lshl_b32 s60, s2, 1                                      // 00000000433C: 8E3C8102
	s_add_u32 s60, 1, s60                                      // 000000004340: 803C3C81
	s_cmp_ge_i32 s60, s77                                      // 000000004344: BF034D3C
	s_cselect_b32 s76, s76, 2                                  // 000000004348: 854C824C

000000000000434c <label_0153>:
	s_mov_b32 m0, s80                                          // 00000000434C: BEFC0050
	s_mov_b32 s66, 0                                           // 000000004350: BEC20080
	v_mov_b32_e32 v178, 0xff800000                             // 000000004354: 7F6402FF FF800000
	s_mov_b32 s74, 0                                           // 00000000435C: BECA0080
	s_mul_i32 s68, 8, s5                                       // 000000004360: 92440588
	s_mul_i32 s99, 8, s51                                      // 000000004364: 92633388
	s_mov_b32 s69, 32                                          // 000000004368: BEC500A0
	s_mul_i32 s95, 0xc0, s2                                    // 00000000436C: 925F02FF 000000C0
	s_sub_i32 s60, s50, s49                                    // 000000004374: 81BC3132
	s_sub_i32 s71, s95, s60                                    // 000000004378: 81C73C5F
	s_cmp_ge_i32 s71, 0                                        // 00000000437C: BF038047
	s_cselect_b32 s59, s71, 0                                  // 000000004380: 853B8047
	s_add_i32 s60, s71, 0xc0                                   // 000000004384: 813CFF47 000000C0
	s_cmp_le_i32 s60, 0                                        // 00000000438C: BF05803C
	s_cbranch_scc0 label_0167                                  // 000000004390: BF840002
	s_mov_b32 s94, 0                                           // 000000004394: BEDE0080
	s_branch label_0173                                        // 000000004398: BF82000C

000000000000439c <label_0167>:
	s_mov_b32 s94, 1                                           // 00000000439C: BEDE0081
	s_sub_i32 s60, s59, s71                                    // 0000000043A0: 81BC473B
	v_lshrrev_b32_e32 v32, 4, v0                               // 0000000043A4: 20400084
	v_mul_i32_i24_e32 v32, 4, v32                              // 0000000043A8: 0C404084
	v_add_i32 v32, v32, s60                                    // 0000000043AC: D29C0020 00007920
	v_and_b32_e32 v33, 15, v0                                  // 0000000043B4: 2642008F
	v_mul_i32_i24_e64 v34, s46, 16                             // 0000000043B8: D1060022 0001202E
	v_add_u32_e32 v33, v33, v34                                // 0000000043C0: 68424521
	v_sub_i32 v236, v33, v32                                   // 0000000043C4: D29D00EC 00024121

00000000000043cc <label_0173>:
	s_mul_i32 s54, s6, s95                                     // 0000000043CC: 92365F06
	s_sub_i32 s61, s50, s95                                    // 0000000043D0: 81BD5F32
	s_mul_i32 s62, s6, s61                                     // 0000000043D4: 923E3D06
	s_lshr_b32 s62, s62, 2                                     // 0000000043D8: 8F3E823E
	s_mov_b32 s14, s62                                         // 0000000043DC: BE8E003E
	s_add_u32 s12, s54, s84                                    // 0000000043E0: 800C5436
	s_addc_u32 s13, 0, s85                                     // 0000000043E4: 820D5580
	s_mul_i32 s54, s7, s95                                     // 0000000043E8: 92365F07
	s_mul_i32 s62, s7, s61                                     // 0000000043EC: 923E3D07
	s_lshr_b32 s62, s62, 2                                     // 0000000043F0: 8F3E823E
	s_mov_b32 s18, s62                                         // 0000000043F4: BE92003E
	s_add_u32 s16, s54, s86                                    // 0000000043F8: 80105636
	s_addc_u32 s17, 0, s87                                     // 0000000043FC: 82115780
	s_mov_b32 s71, s6                                          // 000000004400: BEC70006
	v_lshrrev_b32_e32 v32, 4, v0                               // 000000004404: 20400084
	v_and_b32_e32 v33, 1, v32                                  // 000000004408: 26424081
	v_lshlrev_b32_e32 v33, 1, v33                              // 00000000440C: 24424281
	v_mul_i32_i24_e32 v33, s71, v33                            // 000000004410: 0C424247
	v_and_b32_e32 v34, 2, v32                                  // 000000004414: 26444082
	v_lshlrev_b32_e32 v34, 5, v34                              // 000000004418: 24444485
	v_add_u32_e32 v33, v34, v33                                // 00000000441C: 68424322
	v_and_b32_e32 v32, 15, v0                                  // 000000004420: 2640008F
	v_lshlrev_b32_e32 v32, 2, v32                              // 000000004424: 24404082
	v_add_u32_e32 v1, v32, v33                                 // 000000004428: 68024320
	s_mul_i32 s60, s46, s71                                    // 00000000442C: 923C472E
	s_mul_i32 s60, s60, 4                                      // 000000004430: 923C843C
	v_add_u32_e32 v1, s60, v1                                  // 000000004434: 6802023C
	v_add_u32_e32 v2, s71, v1                                  // 000000004438: 68040247
	s_mul_i32 s60, 16, s71                                     // 00000000443C: 923C4790
	v_add_u32_e32 v3, s60, v1                                  // 000000004440: 6806023C
	v_add_u32_e32 v4, s60, v2                                  // 000000004444: 6808043C
	s_mov_b32 s71, s7                                          // 000000004448: BEC70007
	v_lshrrev_b32_e32 v32, 4, v0                               // 00000000444C: 20400084
	v_and_b32_e32 v33, 1, v32                                  // 000000004450: 26424081
	v_lshlrev_b32_e32 v33, 1, v33                              // 000000004454: 24424281
	v_mul_i32_i24_e32 v33, s71, v33                            // 000000004458: 0C424247
	v_and_b32_e32 v34, 2, v32                                  // 00000000445C: 26444082
	v_lshlrev_b32_e32 v34, 5, v34                              // 000000004460: 24444485
	v_add_u32_e32 v33, v34, v33                                // 000000004464: 68424322
	v_and_b32_e32 v32, 15, v0                                  // 000000004468: 2640008F
	v_lshlrev_b32_e32 v32, 2, v32                              // 00000000446C: 24404082
	v_add_u32_e32 v232, v32, v33                               // 000000004470: 69D04320
	s_mul_i32 s60, s46, s71                                    // 000000004474: 923C472E
	s_mul_i32 s60, s60, 4                                      // 000000004478: 923C843C
	v_add_u32_e32 v232, s60, v232                              // 00000000447C: 69D1D03C
	v_add_u32_e32 v233, s71, v232                              // 000000004480: 69D3D047
	s_mul_i32 s60, 16, s71                                     // 000000004484: 923C4790
	v_add_u32_e32 v234, s60, v232                              // 000000004488: 69D5D03C
	v_add_u32_e32 v235, s60, v233                              // 00000000448C: 69D7D23C
	v_lshrrev_b32_e32 v1, 2, v1                                // 000000004490: 20020282
	v_lshrrev_b32_e32 v2, 2, v2                                // 000000004494: 20040482
	v_lshrrev_b32_e32 v232, 2, v232                            // 000000004498: 21D1D082
	v_lshrrev_b32_e32 v233, 2, v233                            // 00000000449C: 21D3D282
	s_mov_b32 s70, s52                                         // 0000000044A0: BEC60034
	v_lshrrev_b32_e32 v32, 3, v0                               // 0000000044A4: 20400083
	v_mul_i32_i24_e32 v5, s70, v32                             // 0000000044A8: 0C0A4046
	v_lshrrev_b32_e32 v5, 2, v5                                // 0000000044AC: 200A0A82
	v_and_b32_e32 v32, 7, v0                                   // 0000000044B0: 26400087
	v_lshlrev_b32_e32 v33, 2, v32                              // 0000000044B4: 24424082
	v_add_u32_e32 v5, v33, v5                                  // 0000000044B8: 680A0B21
	s_mul_i32 s60, 16, s70                                     // 0000000044BC: 923C4690
	s_mul_i32 s60, s46, s60                                    // 0000000044C0: 923C3C2E
	v_lshlrev_b32_e32 v5, 2, v5                                // 0000000044C4: 240A0A82
	v_add_u32_e32 v5, s60, v5                                  // 0000000044C8: 680A0A3C
	s_mul_i32 s60, s52, s95                                    // 0000000044CC: 923C5F34
	v_add_u32_e32 v5, s60, v5                                  // 0000000044D0: 680A0A3C
	v_lshrrev_b32_e32 v5, 2, v5                                // 0000000044D4: 200A0A82
	s_mov_b32 s70, s53                                         // 0000000044D8: BEC60035
	v_lshrrev_b32_e32 v32, 3, v0                               // 0000000044DC: 20400083
	v_mul_i32_i24_e32 v10, s70, v32                            // 0000000044E0: 0C144046
	v_lshrrev_b32_e32 v10, 2, v10                              // 0000000044E4: 20141482
	v_and_b32_e32 v32, 7, v0                                   // 0000000044E8: 26400087
	v_lshlrev_b32_e32 v33, 2, v32                              // 0000000044EC: 24424082
	v_add_u32_e32 v10, v33, v10                                // 0000000044F0: 68141521
	s_mul_i32 s60, 16, s70                                     // 0000000044F4: 923C4690
	s_mul_i32 s60, s46, s60                                    // 0000000044F8: 923C3C2E
	v_lshlrev_b32_e32 v10, 2, v10                              // 0000000044FC: 24141482
	v_add_u32_e32 v10, s60, v10                                // 000000004500: 6814143C
	s_mul_i32 s60, s53, s95                                    // 000000004504: 923C5F35
	v_add_u32_e32 v10, s60, v10                                // 000000004508: 6814143C
	v_lshrrev_b32_e32 v10, 2, v10                              // 00000000450C: 20141482
	s_cmp_ge_i32 s59, s49                                      // 000000004510: BF03313B
	s_cselect_b32 s59, s49, s59                                // 000000004514: 853B3B31
	s_add_u32 s73, 32, s59                                     // 000000004518: 80493BA0
	s_mul_i32 s55, s5, s59                                     // 00000000451C: 92373B05
	s_sub_i32 s61, s49, s59                                    // 000000004520: 81BD3B31
	s_mul_i32 s62, s5, s61                                     // 000000004524: 923E3D05
	s_lshr_b32 s62, s62, 2                                     // 000000004528: 8F3E823E
	s_mov_b32 s10, s62                                         // 00000000452C: BE8A003E
	s_add_u32 s8, s55, s82                                     // 000000004530: 80085237
	s_addc_u32 s9, 0, s83                                      // 000000004534: 82095380
	s_mul_i32 s56, s51, s59                                    // 000000004538: 92383B33
	s_mul_i32 s62, s51, s61                                    // 00000000453C: 923E3D33
	s_lshr_b32 s62, s62, 2                                     // 000000004540: 8F3E823E
	s_mov_b32 s22, s62                                         // 000000004544: BE96003E
	s_add_u32 s20, s56, s88                                    // 000000004548: 80145838
	s_addc_u32 s21, 0, s89                                     // 00000000454C: 82155980
	s_mul_i32 s65, s59, 4                                      // 000000004550: 9241843B
	v_and_b32_e32 v11, 31, v0                                  // 000000004554: 2616009F
	v_lshlrev_b32_e32 v11, 2, v11                              // 000000004558: 24161682
	v_add_u32_e32 v11, s65, v11                                // 00000000455C: 68161641
	v_lshrrev_b32_e32 v11, 2, v11                              // 000000004560: 20161682
	v_lshrrev_b32_e32 v32, 5, v0                               // 000000004564: 20400085
	v_mul_i32_i24_e32 v6, 0x80, v32                            // 000000004568: 0C0C40FF 00000080
	v_and_b32_e32 v32, 31, v0                                  // 000000004570: 2640009F
	v_add_u32_e32 v6, v32, v6                                  // 000000004574: 680C0D20
	s_mul_i32 s60, s46, 0x100                                  // 000000004578: 923CFF2E 00000100
	v_add_u32_e32 v6, s60, v6                                  // 000000004580: 680C0C3C
	v_lshlrev_b32_e32 v6, 2, v6                                // 000000004584: 240C0C82
	v_add_u32_e32 v7, 0x100, v6                                // 000000004588: 680E0CFF 00000100
	v_add_u32_e32 v8, 0x1000, v6                               // 000000004590: 68100CFF 00001000
	v_add_u32_e32 v9, 0x1000, v7                               // 000000004598: 68120EFF 00001000
	s_mul_i32 s60, 64, s65                                     // 0000000045A0: 923C41C0
	v_add_u32_e32 v6, s60, v6                                  // 0000000045A4: 680C0C3C
	v_lshrrev_b32_e32 v6, 2, v6                                // 0000000045A8: 200C0C82
	v_add_u32_e32 v7, s60, v7                                  // 0000000045AC: 680E0E3C
	v_lshrrev_b32_e32 v7, 2, v7                                // 0000000045B0: 200E0E82
	v_add_u32_e32 v8, s60, v8                                  // 0000000045B4: 6810103C
	v_lshrrev_b32_e32 v8, 2, v8                                // 0000000045B8: 20101082
	v_add_u32_e32 v9, s60, v9                                  // 0000000045BC: 6812123C
	v_lshrrev_b32_e32 v9, 2, v9                                // 0000000045C0: 20121282
	s_mul_i32 s60, 3, s2                                       // 0000000045C4: 923C0283
	s_add_u32 s61, s50, 63                                     // 0000000045C8: 803DBF32
	s_lshr_b32 s61, s61, 6                                     // 0000000045CC: 8F3D863D
	s_sub_i32 s72, s61, s60                                    // 0000000045D0: 81C83C3D
	s_cmp_lt_i32 s72, 3                                        // 0000000045D4: BF048348
	s_cselect_b32 s72, s72, 3                                  // 0000000045D8: 85488348
	s_mul_i32 s60, 0xc0, s2                                    // 0000000045DC: 923C02FF 000000C0
	s_sub_i32 s101, s50, s60                                   // 0000000045E4: 81E53C32
	v_and_b32_e32 v32, 31, v0                                  // 0000000045E8: 2640009F
	v_lshrrev_b32_e32 v32, 1, v32                              // 0000000045EC: 20404081
	v_and_b32_e32 v33, 1, v32                                  // 0000000045F0: 26424081
	v_lshlrev_b32_e32 v33, 4, v33                              // 0000000045F4: 24424284
	v_and_b32_e32 v34, 2, v32                                  // 0000000045F8: 26444082
	v_lshlrev_b32_e32 v34, 2, v34                              // 0000000045FC: 24444482
	v_add_u32_e32 v33, v34, v33                                // 000000004600: 68424322
	v_and_b32_e32 v34, 12, v32                                 // 000000004604: 2644408C
	v_lshrrev_b32_e32 v34, 1, v34                              // 000000004608: 20444481
	v_add_u32_e32 v33, v34, v33                                // 00000000460C: 68424322
	v_lshrrev_b32_e32 v32, 5, v0                               // 000000004610: 20400085
	v_mul_i32_i24_e32 v34, 0x80, v32                           // 000000004614: 0C4440FF 00000080
	v_add_u32_e32 v33, v34, v33                                // 00000000461C: 68424322
	v_and_b32_e32 v34, 1, v0                                   // 000000004620: 26440081
	v_add_u32_e32 v13, v34, v33                                // 000000004624: 681A4322
	s_mul_i32 s60, s46, 32                                     // 000000004628: 923CA02E
	v_add_u32_e32 v13, s60, v13                                // 00000000462C: 681A1A3C
	v_lshlrev_b32_e32 v13, 2, v13                              // 000000004630: 241A1A82
	v_lshrrev_b32_e32 v32, 4, v0                               // 000000004634: 20400084
	v_and_b32_e32 v33, 1, v32                                  // 000000004638: 26424081
	v_lshlrev_b32_e32 v33, 4, v33                              // 00000000463C: 24424284
	v_and_b32_e32 v34, 2, v32                                  // 000000004640: 26444082
	v_mul_i32_i24_e32 v34, 4, v34                              // 000000004644: 0C444484
	v_add_u32_e32 v33, v34, v33                                // 000000004648: 68424322
	v_and_b32_e32 v32, 15, v0                                  // 00000000464C: 2640008F
	v_lshrrev_b32_e32 v34, 2, v32                              // 000000004650: 20444082
	v_lshlrev_b32_e32 v34, 5, v34                              // 000000004654: 24444485
	v_add_u32_e32 v33, v34, v33                                // 000000004658: 68424322
	v_and_b32_e32 v32, 3, v0                                   // 00000000465C: 26400083
	v_and_b32_e32 v34, 1, v32                                  // 000000004660: 26444081
	v_mul_i32_i24_e32 v34, 0x108, v34                          // 000000004664: 0C4444FF 00000108
	v_add_u32_e32 v33, v34, v33                                // 00000000466C: 68424322
	v_and_b32_e32 v34, 2, v32                                  // 000000004670: 26444082
	v_lshlrev_b32_e32 v34, 1, v34                              // 000000004674: 24444481
	v_add_u32_e32 v12, v34, v33                                // 000000004678: 68184322
	v_lshlrev_b32_e32 v12, 2, v12                              // 00000000467C: 24181882
	s_mul_i32 s60, s46, 0x880                                  // 000000004680: 923CFF2E 00000880
	v_add_u32_e32 v24, s60, v12                                // 000000004688: 6830183C
	v_lshrrev_b32_e32 v32, 5, v0                               // 00000000468C: 20400085
	v_mul_i32_i24_e32 v15, 0x80, v32                           // 000000004690: 0C1E40FF 00000080
	v_and_b32_e32 v32, 31, v0                                  // 000000004698: 2640009F
	v_and_b32_e32 v33, 7, v32                                  // 00000000469C: 26424087
	v_and_b32_e32 v34, 1, v33                                  // 0000000046A0: 26444281
	v_lshlrev_b32_e32 v34, 2, v34                              // 0000000046A4: 24444482
	v_add_u32_e32 v15, v34, v15                                // 0000000046A8: 681E1F22
	v_and_b32_e32 v34, 2, v33                                  // 0000000046AC: 26444282
	v_lshlrev_b32_e32 v34, 3, v34                              // 0000000046B0: 24444483
	v_add_u32_e32 v15, v34, v15                                // 0000000046B4: 681E1F22
	v_and_b32_e32 v34, 4, v33                                  // 0000000046B8: 26444284
	v_lshlrev_b32_e32 v34, 1, v34                              // 0000000046BC: 24444481
	v_add_u32_e32 v15, v34, v15                                // 0000000046C0: 681E1F22
	v_lshrrev_b32_e32 v33, 3, v32                              // 0000000046C4: 20424083
	v_and_b32_e32 v34, 1, v33                                  // 0000000046C8: 26444281
	v_lshlrev_b32_e32 v34, 1, v34                              // 0000000046CC: 24444481
	v_add_u32_e32 v15, v34, v15                                // 0000000046D0: 681E1F22
	v_and_b32_e32 v34, 2, v33                                  // 0000000046D4: 26444282
	v_lshrrev_b32_e32 v34, 1, v34                              // 0000000046D8: 20444481
	v_add_u32_e32 v15, v34, v15                                // 0000000046DC: 681E1F22
	s_mul_i32 s60, s46, 32                                     // 0000000046E0: 923CA02E
	v_add_u32_e32 v15, s60, v15                                // 0000000046E4: 681E1E3C
	v_lshlrev_b32_e32 v15, 2, v15                              // 0000000046E8: 241E1E82
	v_and_b32_e32 v32, 15, v0                                  // 0000000046EC: 2640008F
	v_and_b32_e32 v34, 1, v32                                  // 0000000046F0: 26444081
	v_mul_i32_i24_e32 v14, 0x108, v34                          // 0000000046F4: 0C1C44FF 00000108
	v_and_b32_e32 v34, 2, v32                                  // 0000000046FC: 26444082
	v_lshlrev_b32_e32 v34, 1, v34                              // 000000004700: 24444481
	v_add_u32_e32 v14, v34, v14                                // 000000004704: 681C1D22
	v_and_b32_e32 v34, 4, v32                                  // 000000004708: 26444084
	v_lshlrev_b32_e32 v34, 2, v34                              // 00000000470C: 24444482
	v_add_u32_e32 v14, v34, v14                                // 000000004710: 681C1D22
	v_and_b32_e32 v34, 8, v32                                  // 000000004714: 26444088
	v_add_u32_e32 v14, v34, v14                                // 000000004718: 681C1D22
	v_lshrrev_b32_e32 v32, 4, v0                               // 00000000471C: 20400084
	v_and_b32_e32 v34, 1, v32                                  // 000000004720: 26444081
	v_lshlrev_b32_e32 v34, 5, v34                              // 000000004724: 24444485
	v_add_u32_e32 v14, v34, v14                                // 000000004728: 681C1D22
	v_and_b32_e32 v33, 2, v32                                  // 00000000472C: 26424082
	v_mul_i32_i24_e32 v34, 32, v33                             // 000000004730: 0C4442A0
	v_mul_i32_i24_e32 v33, 0x110, v33                          // 000000004734: 0C4242FF 00000110
	v_add_u32_e32 v25, v33, v14                                // 00000000473C: 68321D21
	v_add_u32_e32 v14, v34, v14                                // 000000004740: 681C1D22
	v_lshlrev_b32_e32 v14, 2, v14                              // 000000004744: 241C1C82
	v_lshlrev_b32_e32 v25, 2, v25                              // 000000004748: 24323282
	s_and_b32 s60, 1, s46                                      // 00000000474C: 863C2E81
	s_mul_i32 s60, s60, 0x200                                  // 000000004750: 923CFF3C 00000200
	v_add_u32_e32 v25, s60, v25                                // 000000004758: 6832323C
	v_lshrrev_b32_e32 v32, 4, v0                               // 00000000475C: 20400084
	v_mul_i32_i24_e32 v23, 4, v32                              // 000000004760: 0C2E4084
	v_and_b32_e32 v33, 3, v0                                   // 000000004764: 26420083
	v_add_u32_e32 v23, v33, v23                                // 000000004768: 682E2F21
	v_lshlrev_b32_e32 v23, 2, v23                              // 00000000476C: 242E2E82
	v_lshrrev_b32_e32 v32, 4, v0                               // 000000004770: 20400084
	v_and_b32_e32 v33, 1, v32                                  // 000000004774: 26424081
	v_mul_i32_i24_e32 v21, 0x100, v33                          // 000000004778: 0C2A42FF 00000100
	v_and_b32_e32 v33, 2, v32                                  // 000000004780: 26424082
	v_mul_i32_i24_e32 v33, 64, v33                             // 000000004784: 0C4242C0
	v_add_u32_e32 v21, v33, v21                                // 000000004788: 682A2B21
	v_and_b32_e32 v32, 15, v0                                  // 00000000478C: 2640008F
	v_mul_i32_i24_e32 v33, 2, v32                              // 000000004790: 0C424082
	v_add_u32_e32 v21, v33, v21                                // 000000004794: 682A2B21
	s_mul_i32 s60, s46, 32                                     // 000000004798: 923CA02E
	v_add_u32_e32 v21, s60, v21                                // 00000000479C: 682A2A3C
	v_lshlrev_b32_e32 v21, 2, v21                              // 0000000047A0: 242A2A82
	v_lshlrev_b32_e32 v22, 1, v0                               // 0000000047A4: 242C0081
	s_mul_i32 s60, s46, 0x200                                  // 0000000047A8: 923CFF2E 00000200
	v_add_u32_e32 v22, s60, v22                                // 0000000047B0: 682C2C3C
	v_lshlrev_b32_e32 v22, 2, v22                              // 0000000047B4: 242C2C82
	v_lshrrev_b32_e32 v32, 5, v0                               // 0000000047B8: 20400085
	v_mul_i32_i24_e32 v19, 64, v32                             // 0000000047BC: 0C2640C0
	v_and_b32_e32 v32, 31, v0                                  // 0000000047C0: 2640009F
	v_and_b32_e32 v32, 3, v32                                  // 0000000047C4: 26404083
	v_and_b32_e32 v33, 1, v32                                  // 0000000047C8: 26424081
	v_mul_i32_i24_e32 v33, 4, v33                              // 0000000047CC: 0C424284
	v_add_u32_e32 v19, v33, v19                                // 0000000047D0: 68262721
	v_and_b32_e32 v33, 2, v32                                  // 0000000047D4: 26424082
	v_mul_i32_i24_e32 v33, 0x44, v33                           // 0000000047D8: 0C4242FF 00000044
	v_add_u32_e32 v19, v33, v19                                // 0000000047E0: 68262721
	v_and_b32_e32 v32, 31, v0                                  // 0000000047E4: 2640009F
	v_lshrrev_b32_e32 v32, 2, v32                              // 0000000047E8: 20404082
	v_lshrrev_b32_e32 v34, 2, v32                              // 0000000047EC: 20444082
	v_mul_i32_i24_e32 v33, 16, v34                             // 0000000047F0: 0C424490
	v_add_u32_e32 v19, v33, v19                                // 0000000047F4: 68262721
	v_and_b32_e32 v33, 2, v32                                  // 0000000047F8: 26424082
	v_lshlrev_b32_e32 v33, 4, v33                              // 0000000047FC: 24424284
	v_add_u32_e32 v19, v33, v19                                // 000000004800: 68262721
	v_and_b32_e32 v33, 1, v32                                  // 000000004804: 26424081
	v_xor_b32_e32 v33, v34, v33                                // 000000004808: 2A424322
	v_mul_i32_i24_e32 v33, 8, v33                              // 00000000480C: 0C424288
	v_add_u32_e32 v19, v33, v19                                // 000000004810: 68262721
	s_lshr_b32 s60, s46, 1                                     // 000000004814: 8F3C812E
	s_mul_i32 s60, s60, 0x6c0                                  // 000000004818: 923CFF3C 000006C0
	v_add_u32_e32 v19, s60, v19                                // 000000004820: 6826263C
	v_lshlrev_b32_e32 v19, 2, v19                              // 000000004824: 24262682
	v_lshrrev_b32_e32 v32, 5, v0                               // 000000004828: 20400085
	v_mul_i32_i24_e32 v20, 32, v32                             // 00000000482C: 0C2840A0
	v_and_b32_e32 v32, 31, v0                                  // 000000004830: 2640009F
	v_and_b32_e32 v32, 3, v32                                  // 000000004834: 26404083
	v_and_b32_e32 v33, 1, v32                                  // 000000004838: 26424081
	v_mul_i32_i24_e32 v33, 4, v33                              // 00000000483C: 0C424284
	v_add_u32_e32 v20, v33, v20                                // 000000004840: 68282921
	v_and_b32_e32 v33, 2, v32                                  // 000000004844: 26424082
	v_lshrrev_b32_e32 v33, 1, v33                              // 000000004848: 20424281
	v_add_u32_e32 v20, v33, v20                                // 00000000484C: 68282921
	v_and_b32_e32 v32, 31, v0                                  // 000000004850: 2640009F
	v_lshrrev_b32_e32 v32, 2, v32                              // 000000004854: 20404082
	v_and_b32_e32 v34, 1, v32                                  // 000000004858: 26444081
	v_mul_i32_i24_e32 v33, 16, v34                             // 00000000485C: 0C424490
	v_add_u32_e32 v20, v33, v20                                // 000000004860: 68282921
	v_and_b32_e32 v33, 2, v32                                  // 000000004864: 26424082
	v_add_u32_e32 v20, v33, v20                                // 000000004868: 68282921
	v_lshrrev_b32_e32 v33, 2, v32                              // 00000000486C: 20424082
	v_xor_b32_e32 v33, v34, v33                                // 000000004870: 2A424322
	v_mul_i32_i24_e32 v33, 8, v33                              // 000000004874: 0C424288
	v_add_u32_e32 v20, v33, v20                                // 000000004878: 68282921
	s_and_b32 s60, 1, s46                                      // 00000000487C: 863C2E81
	s_mul_i32 s60, s60, 64                                     // 000000004880: 923CC03C
	s_lshr_b32 s61, s46, 1                                     // 000000004884: 8F3D812E
	s_mul_i32 s61, s61, 0x120                                  // 000000004888: 923DFF3D 00000120
	s_add_u32 s60, s60, s61                                    // 000000004890: 803C3D3C
	v_add_u32_e32 v20, s60, v20                                // 000000004894: 6828283C
	v_lshlrev_b32_e32 v20, 2, v20                              // 000000004898: 24282882
	buffer_load_dword v180, v1, s[12:15], 0 idxen              // 00000000489C: E0502000 8003B401
	buffer_load_dword v181, v2, s[12:15], 0 idxen              // 0000000048A4: E0502000 8003B502
	s_mul_i32 s60, 4, s6                                       // 0000000048AC: 923C0684
	s_cmp_lt_i32 0, s72                                        // 0000000048B0: BF044880
	s_cselect_b32 s60, s60, 0                                  // 0000000048B4: 853C803C
	v_add_u32_e32 v1, s60, v1                                  // 0000000048B8: 6802023C
	v_add_u32_e32 v2, s60, v2                                  // 0000000048BC: 6804043C
	buffer_load_dword v182, v1, s[12:15], 0 idxen              // 0000000048C0: E0502000 8003B601
	buffer_load_dword v183, v2, s[12:15], 0 idxen              // 0000000048C8: E0502000 8003B702
	s_mul_i32 s60, 4, s6                                       // 0000000048D0: 923C0684
	s_cmp_lt_i32 0, s72                                        // 0000000048D4: BF044880
	s_cselect_b32 s60, s60, 0                                  // 0000000048D8: 853C803C
	v_add_u32_e32 v1, s60, v1                                  // 0000000048DC: 6802023C
	v_add_u32_e32 v2, s60, v2                                  // 0000000048E0: 6804043C
	buffer_load_dword v184, v1, s[12:15], 0 idxen              // 0000000048E4: E0502000 8003B801
	buffer_load_dword v185, v2, s[12:15], 0 idxen              // 0000000048EC: E0502000 8003B902
	s_mul_i32 s60, 4, s6                                       // 0000000048F4: 923C0684
	s_cmp_lt_i32 0, s72                                        // 0000000048F8: BF044880
	s_cselect_b32 s60, s60, 0                                  // 0000000048FC: 853C803C
	v_add_u32_e32 v1, s60, v1                                  // 000000004900: 6802023C
	v_add_u32_e32 v2, s60, v2                                  // 000000004904: 6804043C
	buffer_load_dword v186, v1, s[12:15], 0 idxen              // 000000004908: E0502000 8003BA01
	buffer_load_dword v187, v2, s[12:15], 0 idxen              // 000000004910: E0502000 8003BB02
	s_mul_i32 s60, 4, s6                                       // 000000004918: 923C0684
	s_cmp_lt_i32 1, s72                                        // 00000000491C: BF044881
	s_cselect_b32 s60, s60, 0                                  // 000000004920: 853C803C
	v_add_u32_e32 v1, s60, v1                                  // 000000004924: 6802023C
	v_add_u32_e32 v2, s60, v2                                  // 000000004928: 6804043C
	buffer_load_dword v188, v1, s[12:15], 0 idxen              // 00000000492C: E0502000 8003BC01
	buffer_load_dword v189, v2, s[12:15], 0 idxen              // 000000004934: E0502000 8003BD02
	s_mul_i32 s60, 4, s6                                       // 00000000493C: 923C0684
	s_cmp_lt_i32 1, s72                                        // 000000004940: BF044881
	s_cselect_b32 s60, s60, 0                                  // 000000004944: 853C803C
	v_add_u32_e32 v1, s60, v1                                  // 000000004948: 6802023C
	v_add_u32_e32 v2, s60, v2                                  // 00000000494C: 6804043C
	buffer_load_dword v190, v1, s[12:15], 0 idxen              // 000000004950: E0502000 8003BE01
	buffer_load_dword v191, v2, s[12:15], 0 idxen              // 000000004958: E0502000 8003BF02
	s_mul_i32 s60, 4, s6                                       // 000000004960: 923C0684
	s_cmp_lt_i32 1, s72                                        // 000000004964: BF044881
	s_cselect_b32 s60, s60, 0                                  // 000000004968: 853C803C
	v_add_u32_e32 v1, s60, v1                                  // 00000000496C: 6802023C
	v_add_u32_e32 v2, s60, v2                                  // 000000004970: 6804043C
	buffer_load_dword v192, v1, s[12:15], 0 idxen              // 000000004974: E0502000 8003C001
	buffer_load_dword v193, v2, s[12:15], 0 idxen              // 00000000497C: E0502000 8003C102
	s_mul_i32 s60, 4, s6                                       // 000000004984: 923C0684
	s_cmp_lt_i32 1, s72                                        // 000000004988: BF044881
	s_cselect_b32 s60, s60, 0                                  // 00000000498C: 853C803C
	v_add_u32_e32 v1, s60, v1                                  // 000000004990: 6802023C
	v_add_u32_e32 v2, s60, v2                                  // 000000004994: 6804043C
	buffer_load_dword v194, v1, s[12:15], 0 idxen              // 000000004998: E0502000 8003C201
	buffer_load_dword v195, v2, s[12:15], 0 idxen              // 0000000049A0: E0502000 8003C302
	s_mul_i32 s60, 4, s6                                       // 0000000049A8: 923C0684
	s_cmp_lt_i32 2, s72                                        // 0000000049AC: BF044882
	s_cselect_b32 s60, s60, 0                                  // 0000000049B0: 853C803C
	v_add_u32_e32 v1, s60, v1                                  // 0000000049B4: 6802023C
	v_add_u32_e32 v2, s60, v2                                  // 0000000049B8: 6804043C
	buffer_load_dword v196, v1, s[12:15], 0 idxen              // 0000000049BC: E0502000 8003C401
	buffer_load_dword v197, v2, s[12:15], 0 idxen              // 0000000049C4: E0502000 8003C502
	s_mul_i32 s60, 4, s6                                       // 0000000049CC: 923C0684
	s_cmp_lt_i32 2, s72                                        // 0000000049D0: BF044882
	s_cselect_b32 s60, s60, 0                                  // 0000000049D4: 853C803C
	v_add_u32_e32 v1, s60, v1                                  // 0000000049D8: 6802023C
	v_add_u32_e32 v2, s60, v2                                  // 0000000049DC: 6804043C
	buffer_load_dword v198, v1, s[12:15], 0 idxen              // 0000000049E0: E0502000 8003C601
	buffer_load_dword v199, v2, s[12:15], 0 idxen              // 0000000049E8: E0502000 8003C702
	s_mul_i32 s60, 4, s6                                       // 0000000049F0: 923C0684
	s_cmp_lt_i32 2, s72                                        // 0000000049F4: BF044882
	s_cselect_b32 s60, s60, 0                                  // 0000000049F8: 853C803C
	v_add_u32_e32 v1, s60, v1                                  // 0000000049FC: 6802023C
	v_add_u32_e32 v2, s60, v2                                  // 000000004A00: 6804043C
	buffer_load_dword v200, v1, s[12:15], 0 idxen              // 000000004A04: E0502000 8003C801
	buffer_load_dword v201, v2, s[12:15], 0 idxen              // 000000004A0C: E0502000 8003C902
	s_mul_i32 s60, 4, s6                                       // 000000004A14: 923C0684
	s_cmp_lt_i32 2, s72                                        // 000000004A18: BF044882
	s_cselect_b32 s60, s60, 0                                  // 000000004A1C: 853C803C
	v_add_u32_e32 v1, s60, v1                                  // 000000004A20: 6802023C
	v_add_u32_e32 v2, s60, v2                                  // 000000004A24: 6804043C
	buffer_load_dword v202, v1, s[12:15], 0 idxen              // 000000004A28: E0502000 8003CA01
	buffer_load_dword v203, v2, s[12:15], 0 idxen              // 000000004A30: E0502000 8003CB02
	s_mul_i32 s60, 4, s6                                       // 000000004A38: 923C0684
	s_cmp_lt_i32 3, s72                                        // 000000004A3C: BF044883
	s_cselect_b32 s60, s60, 0                                  // 000000004A40: 853C803C
	v_add_u32_e32 v1, s60, v1                                  // 000000004A44: 6802023C
	v_add_u32_e32 v2, s60, v2                                  // 000000004A48: 6804043C
	s_waitcnt vmcnt(16) lgkmcnt(0)                             // 000000004A4C: BF8C4070
	s_barrier                                                  // 000000004A50: BF8A0000
	s_cmp_lt_i32 0, s72                                        // 000000004A54: BF044880
	s_cbranch_scc1 label_031F                                  // 000000004A58: BF850008
	v_mov_b32_e32 v180, 0                                      // 000000004A5C: 7F680280
	v_mov_b32_e32 v181, 0                                      // 000000004A60: 7F6A0280
	v_mov_b32_e32 v182, 0                                      // 000000004A64: 7F6C0280
	v_mov_b32_e32 v183, 0                                      // 000000004A68: 7F6E0280
	v_mov_b32_e32 v184, 0                                      // 000000004A6C: 7F700280
	v_mov_b32_e32 v185, 0                                      // 000000004A70: 7F720280
	v_mov_b32_e32 v186, 0                                      // 000000004A74: 7F740280
	v_mov_b32_e32 v187, 0                                      // 000000004A78: 7F760280

0000000000004a7c <label_031F>:
	v_perm_b32 v204, v181, v180, s63                           // 000000004A7C: D1ED00CC 00FF69B5
	v_perm_b32 v205, v181, v180, s64                           // 000000004A84: D1ED00CD 010369B5
	v_perm_b32 v206, v183, v182, s63                           // 000000004A8C: D1ED00CE 00FF6DB7
	v_perm_b32 v207, v183, v182, s64                           // 000000004A94: D1ED00CF 01036DB7
	v_perm_b32 v208, v185, v184, s63                           // 000000004A9C: D1ED00D0 00FF71B9
	v_perm_b32 v209, v185, v184, s64                           // 000000004AA4: D1ED00D1 010371B9
	v_perm_b32 v210, v187, v186, s63                           // 000000004AAC: D1ED00D2 00FF75BB
	v_perm_b32 v211, v187, v186, s64                           // 000000004AB4: D1ED00D3 010375BB
	ds_write_b32 v15, v204 offset:8704                         // 000000004ABC: D81A2200 0000CC0F
	ds_write_b32 v15, v205 offset:9760                         // 000000004AC4: D81A2620 0000CD0F
	ds_write_b32 v15, v206 offset:10880                        // 000000004ACC: D81A2A80 0000CE0F
	ds_write_b32 v15, v207 offset:11936                        // 000000004AD4: D81A2EA0 0000CF0F
	ds_write_b32 v15, v208 offset:13056                        // 000000004ADC: D81A3300 0000D00F
	ds_write_b32 v15, v209 offset:14112                        // 000000004AE4: D81A3720 0000D10F
	ds_write_b32 v15, v210 offset:15232                        // 000000004AEC: D81A3B80 0000D20F
	ds_write_b32 v15, v211 offset:16288                        // 000000004AF4: D81A3FA0 0000D30F
	ds_write_b32 v13, v180                                     // 000000004AFC: D81A0000 0000B40D
	ds_write_b32 v13, v181 offset:1056                         // 000000004B04: D81A0420 0000B50D
	ds_write_b32 v13, v182 offset:2176                         // 000000004B0C: D81A0880 0000B60D
	ds_write_b32 v13, v183 offset:3232                         // 000000004B14: D81A0CA0 0000B70D
	ds_write_b32 v13, v184 offset:4352                         // 000000004B1C: D81A1100 0000B80D
	ds_write_b32 v13, v185 offset:5408                         // 000000004B24: D81A1520 0000B90D
	ds_write_b32 v13, v186 offset:6528                         // 000000004B2C: D81A1980 0000BA0D
	ds_write_b32 v13, v187 offset:7584                         // 000000004B34: D81A1DA0 0000BB0D
	buffer_load_dword v180, v232, s[16:19], 0 idxen            // 000000004B3C: E0502000 8004B4E8
	buffer_load_dword v181, v233, s[16:19], 0 idxen            // 000000004B44: E0502000 8004B5E9
	s_mul_i32 s60, 4, s7                                       // 000000004B4C: 923C0784
	s_cmp_lt_i32 0, s72                                        // 000000004B50: BF044880
	s_cselect_b32 s60, s60, 0                                  // 000000004B54: 853C803C
	v_add_u32_e32 v232, s60, v232                              // 000000004B58: 69D1D03C
	v_add_u32_e32 v233, s60, v233                              // 000000004B5C: 69D3D23C
	buffer_load_dword v182, v232, s[16:19], 0 idxen            // 000000004B60: E0502000 8004B6E8
	buffer_load_dword v183, v233, s[16:19], 0 idxen            // 000000004B68: E0502000 8004B7E9
	s_mul_i32 s60, 4, s7                                       // 000000004B70: 923C0784
	s_cmp_lt_i32 0, s72                                        // 000000004B74: BF044880
	s_cselect_b32 s60, s60, 0                                  // 000000004B78: 853C803C
	v_add_u32_e32 v232, s60, v232                              // 000000004B7C: 69D1D03C
	v_add_u32_e32 v233, s60, v233                              // 000000004B80: 69D3D23C
	buffer_load_dword v184, v232, s[16:19], 0 idxen            // 000000004B84: E0502000 8004B8E8
	buffer_load_dword v185, v233, s[16:19], 0 idxen            // 000000004B8C: E0502000 8004B9E9
	s_mul_i32 s60, 4, s7                                       // 000000004B94: 923C0784
	s_cmp_lt_i32 0, s72                                        // 000000004B98: BF044880
	s_cselect_b32 s60, s60, 0                                  // 000000004B9C: 853C803C
	v_add_u32_e32 v232, s60, v232                              // 000000004BA0: 69D1D03C
	v_add_u32_e32 v233, s60, v233                              // 000000004BA4: 69D3D23C
	buffer_load_dword v186, v232, s[16:19], 0 idxen            // 000000004BA8: E0502000 8004BAE8
	buffer_load_dword v187, v233, s[16:19], 0 idxen            // 000000004BB0: E0502000 8004BBE9
	s_mul_i32 s60, 4, s7                                       // 000000004BB8: 923C0784
	s_cmp_lt_i32 1, s72                                        // 000000004BBC: BF044881
	s_cselect_b32 s60, s60, 0                                  // 000000004BC0: 853C803C
	v_add_u32_e32 v232, s60, v232                              // 000000004BC4: 69D1D03C
	v_add_u32_e32 v233, s60, v233                              // 000000004BC8: 69D3D23C
	s_waitcnt lgkmcnt(0)                                       // 000000004BCC: BF8CC07F
	s_barrier                                                  // 000000004BD0: BF8A0000
	ds_read_b128 a[24:27], v25 offset:8704                     // 000000004BD4: DBFE2200 18000019
	ds_read_b128 a[28:31], v25 offset:8960                     // 000000004BDC: DBFE2300 1C000019
	ds_read_b128 a[32:35], v25 offset:13056                    // 000000004BE4: DBFE3300 20000019
	ds_read_b128 a[36:39], v25 offset:13312                    // 000000004BEC: DBFE3400 24000019
	ds_read_b128 a[0:3], v24                                   // 000000004BF4: DBFE0000 00000018
	ds_read_b128 a[4:7], v24 offset:512                        // 000000004BFC: DBFE0200 04000018
	s_waitcnt vmcnt(16) lgkmcnt(0)                             // 000000004C04: BF8C4070
	s_barrier                                                  // 000000004C08: BF8A0000
	s_cmp_lt_i32 1, s72                                        // 000000004C0C: BF044881
	s_cbranch_scc1 label_038D                                  // 000000004C10: BF850008
	v_mov_b32_e32 v188, 0                                      // 000000004C14: 7F780280
	v_mov_b32_e32 v189, 0                                      // 000000004C18: 7F7A0280
	v_mov_b32_e32 v190, 0                                      // 000000004C1C: 7F7C0280
	v_mov_b32_e32 v191, 0                                      // 000000004C20: 7F7E0280
	v_mov_b32_e32 v192, 0                                      // 000000004C24: 7F800280
	v_mov_b32_e32 v193, 0                                      // 000000004C28: 7F820280
	v_mov_b32_e32 v194, 0                                      // 000000004C2C: 7F840280
	v_mov_b32_e32 v195, 0                                      // 000000004C30: 7F860280

0000000000004c34 <label_038D>:
	v_perm_b32 v204, v189, v188, s63                           // 000000004C34: D1ED00CC 00FF79BD
	v_perm_b32 v205, v189, v188, s64                           // 000000004C3C: D1ED00CD 010379BD
	v_perm_b32 v206, v191, v190, s63                           // 000000004C44: D1ED00CE 00FF7DBF
	v_perm_b32 v207, v191, v190, s64                           // 000000004C4C: D1ED00CF 01037DBF
	v_perm_b32 v208, v193, v192, s63                           // 000000004C54: D1ED00D0 00FF81C1
	v_perm_b32 v209, v193, v192, s64                           // 000000004C5C: D1ED00D1 010381C1
	v_perm_b32 v210, v195, v194, s63                           // 000000004C64: D1ED00D2 00FF85C3
	v_perm_b32 v211, v195, v194, s64                           // 000000004C6C: D1ED00D3 010385C3
	ds_write_b32 v15, v204 offset:8704                         // 000000004C74: D81A2200 0000CC0F
	ds_write_b32 v15, v205 offset:9760                         // 000000004C7C: D81A2620 0000CD0F
	ds_write_b32 v15, v206 offset:10880                        // 000000004C84: D81A2A80 0000CE0F
	ds_write_b32 v15, v207 offset:11936                        // 000000004C8C: D81A2EA0 0000CF0F
	ds_write_b32 v15, v208 offset:13056                        // 000000004C94: D81A3300 0000D00F
	ds_write_b32 v15, v209 offset:14112                        // 000000004C9C: D81A3720 0000D10F
	ds_write_b32 v15, v210 offset:15232                        // 000000004CA4: D81A3B80 0000D20F
	ds_write_b32 v15, v211 offset:16288                        // 000000004CAC: D81A3FA0 0000D30F
	ds_write_b32 v13, v188                                     // 000000004CB4: D81A0000 0000BC0D
	ds_write_b32 v13, v189 offset:1056                         // 000000004CBC: D81A0420 0000BD0D
	ds_write_b32 v13, v190 offset:2176                         // 000000004CC4: D81A0880 0000BE0D
	ds_write_b32 v13, v191 offset:3232                         // 000000004CCC: D81A0CA0 0000BF0D
	ds_write_b32 v13, v192 offset:4352                         // 000000004CD4: D81A1100 0000C00D
	ds_write_b32 v13, v193 offset:5408                         // 000000004CDC: D81A1520 0000C10D
	ds_write_b32 v13, v194 offset:6528                         // 000000004CE4: D81A1980 0000C20D
	ds_write_b32 v13, v195 offset:7584                         // 000000004CEC: D81A1DA0 0000C30D
	buffer_load_dword v188, v232, s[16:19], 0 idxen            // 000000004CF4: E0502000 8004BCE8
	buffer_load_dword v189, v233, s[16:19], 0 idxen            // 000000004CFC: E0502000 8004BDE9
	s_mul_i32 s60, 4, s7                                       // 000000004D04: 923C0784
	s_cmp_lt_i32 1, s72                                        // 000000004D08: BF044881
	s_cselect_b32 s60, s60, 0                                  // 000000004D0C: 853C803C
	v_add_u32_e32 v232, s60, v232                              // 000000004D10: 69D1D03C
	v_add_u32_e32 v233, s60, v233                              // 000000004D14: 69D3D23C
	buffer_load_dword v190, v232, s[16:19], 0 idxen            // 000000004D18: E0502000 8004BEE8
	buffer_load_dword v191, v233, s[16:19], 0 idxen            // 000000004D20: E0502000 8004BFE9
	s_mul_i32 s60, 4, s7                                       // 000000004D28: 923C0784
	s_cmp_lt_i32 1, s72                                        // 000000004D2C: BF044881
	s_cselect_b32 s60, s60, 0                                  // 000000004D30: 853C803C
	v_add_u32_e32 v232, s60, v232                              // 000000004D34: 69D1D03C
	v_add_u32_e32 v233, s60, v233                              // 000000004D38: 69D3D23C
	buffer_load_dword v192, v232, s[16:19], 0 idxen            // 000000004D3C: E0502000 8004C0E8
	buffer_load_dword v193, v233, s[16:19], 0 idxen            // 000000004D44: E0502000 8004C1E9
	s_mul_i32 s60, 4, s7                                       // 000000004D4C: 923C0784
	s_cmp_lt_i32 1, s72                                        // 000000004D50: BF044881
	s_cselect_b32 s60, s60, 0                                  // 000000004D54: 853C803C
	v_add_u32_e32 v232, s60, v232                              // 000000004D58: 69D1D03C
	v_add_u32_e32 v233, s60, v233                              // 000000004D5C: 69D3D23C
	buffer_load_dword v194, v232, s[16:19], 0 idxen            // 000000004D60: E0502000 8004C2E8
	buffer_load_dword v195, v233, s[16:19], 0 idxen            // 000000004D68: E0502000 8004C3E9
	s_mul_i32 s60, 4, s7                                       // 000000004D70: 923C0784
	s_cmp_lt_i32 2, s72                                        // 000000004D74: BF044882
	s_cselect_b32 s60, s60, 0                                  // 000000004D78: 853C803C
	v_add_u32_e32 v232, s60, v232                              // 000000004D7C: 69D1D03C
	v_add_u32_e32 v233, s60, v233                              // 000000004D80: 69D3D23C
	s_waitcnt lgkmcnt(0)                                       // 000000004D84: BF8CC07F
	s_barrier                                                  // 000000004D88: BF8A0000
	ds_read_b128 a[40:43], v25 offset:8704                     // 000000004D8C: DBFE2200 28000019
	ds_read_b128 a[44:47], v25 offset:8960                     // 000000004D94: DBFE2300 2C000019
	ds_read_b128 a[48:51], v25 offset:13056                    // 000000004D9C: DBFE3300 30000019
	ds_read_b128 a[52:55], v25 offset:13312                    // 000000004DA4: DBFE3400 34000019
	ds_read_b128 a[8:11], v24                                  // 000000004DAC: DBFE0000 08000018
	ds_read_b128 a[12:15], v24 offset:512                      // 000000004DB4: DBFE0200 0C000018
	s_waitcnt vmcnt(16) lgkmcnt(0)                             // 000000004DBC: BF8C4070
	s_barrier                                                  // 000000004DC0: BF8A0000
	s_cmp_lt_i32 2, s72                                        // 000000004DC4: BF044882
	s_cbranch_scc1 label_03FB                                  // 000000004DC8: BF850008
	v_mov_b32_e32 v196, 0                                      // 000000004DCC: 7F880280
	v_mov_b32_e32 v197, 0                                      // 000000004DD0: 7F8A0280
	v_mov_b32_e32 v198, 0                                      // 000000004DD4: 7F8C0280
	v_mov_b32_e32 v199, 0                                      // 000000004DD8: 7F8E0280
	v_mov_b32_e32 v200, 0                                      // 000000004DDC: 7F900280
	v_mov_b32_e32 v201, 0                                      // 000000004DE0: 7F920280
	v_mov_b32_e32 v202, 0                                      // 000000004DE4: 7F940280
	v_mov_b32_e32 v203, 0                                      // 000000004DE8: 7F960280

0000000000004dec <label_03FB>:
	v_perm_b32 v204, v197, v196, s63                           // 000000004DEC: D1ED00CC 00FF89C5
	v_perm_b32 v205, v197, v196, s64                           // 000000004DF4: D1ED00CD 010389C5
	v_perm_b32 v206, v199, v198, s63                           // 000000004DFC: D1ED00CE 00FF8DC7
	v_perm_b32 v207, v199, v198, s64                           // 000000004E04: D1ED00CF 01038DC7
	v_perm_b32 v208, v201, v200, s63                           // 000000004E0C: D1ED00D0 00FF91C9
	v_perm_b32 v209, v201, v200, s64                           // 000000004E14: D1ED00D1 010391C9
	v_perm_b32 v210, v203, v202, s63                           // 000000004E1C: D1ED00D2 00FF95CB
	v_perm_b32 v211, v203, v202, s64                           // 000000004E24: D1ED00D3 010395CB
	ds_write_b32 v15, v204 offset:8704                         // 000000004E2C: D81A2200 0000CC0F
	ds_write_b32 v15, v205 offset:9760                         // 000000004E34: D81A2620 0000CD0F
	ds_write_b32 v15, v206 offset:10880                        // 000000004E3C: D81A2A80 0000CE0F
	ds_write_b32 v15, v207 offset:11936                        // 000000004E44: D81A2EA0 0000CF0F
	ds_write_b32 v15, v208 offset:13056                        // 000000004E4C: D81A3300 0000D00F
	ds_write_b32 v15, v209 offset:14112                        // 000000004E54: D81A3720 0000D10F
	ds_write_b32 v15, v210 offset:15232                        // 000000004E5C: D81A3B80 0000D20F
	ds_write_b32 v15, v211 offset:16288                        // 000000004E64: D81A3FA0 0000D30F
	ds_write_b32 v13, v196                                     // 000000004E6C: D81A0000 0000C40D
	ds_write_b32 v13, v197 offset:1056                         // 000000004E74: D81A0420 0000C50D
	ds_write_b32 v13, v198 offset:2176                         // 000000004E7C: D81A0880 0000C60D
	ds_write_b32 v13, v199 offset:3232                         // 000000004E84: D81A0CA0 0000C70D
	ds_write_b32 v13, v200 offset:4352                         // 000000004E8C: D81A1100 0000C80D
	ds_write_b32 v13, v201 offset:5408                         // 000000004E94: D81A1520 0000C90D
	ds_write_b32 v13, v202 offset:6528                         // 000000004E9C: D81A1980 0000CA0D
	ds_write_b32 v13, v203 offset:7584                         // 000000004EA4: D81A1DA0 0000CB0D
	buffer_load_dword v196, v232, s[16:19], 0 idxen            // 000000004EAC: E0502000 8004C4E8
	buffer_load_dword v197, v233, s[16:19], 0 idxen            // 000000004EB4: E0502000 8004C5E9
	s_mul_i32 s60, 4, s7                                       // 000000004EBC: 923C0784
	s_cmp_lt_i32 2, s72                                        // 000000004EC0: BF044882
	s_cselect_b32 s60, s60, 0                                  // 000000004EC4: 853C803C
	v_add_u32_e32 v232, s60, v232                              // 000000004EC8: 69D1D03C
	v_add_u32_e32 v233, s60, v233                              // 000000004ECC: 69D3D23C
	buffer_load_dword v198, v232, s[16:19], 0 idxen            // 000000004ED0: E0502000 8004C6E8
	buffer_load_dword v199, v233, s[16:19], 0 idxen            // 000000004ED8: E0502000 8004C7E9
	s_mul_i32 s60, 4, s7                                       // 000000004EE0: 923C0784
	s_cmp_lt_i32 2, s72                                        // 000000004EE4: BF044882
	s_cselect_b32 s60, s60, 0                                  // 000000004EE8: 853C803C
	v_add_u32_e32 v232, s60, v232                              // 000000004EEC: 69D1D03C
	v_add_u32_e32 v233, s60, v233                              // 000000004EF0: 69D3D23C
	buffer_load_dword v200, v232, s[16:19], 0 idxen            // 000000004EF4: E0502000 8004C8E8
	buffer_load_dword v201, v233, s[16:19], 0 idxen            // 000000004EFC: E0502000 8004C9E9
	s_mul_i32 s60, 4, s7                                       // 000000004F04: 923C0784
	s_cmp_lt_i32 2, s72                                        // 000000004F08: BF044882
	s_cselect_b32 s60, s60, 0                                  // 000000004F0C: 853C803C
	v_add_u32_e32 v232, s60, v232                              // 000000004F10: 69D1D03C
	v_add_u32_e32 v233, s60, v233                              // 000000004F14: 69D3D23C
	buffer_load_dword v202, v232, s[16:19], 0 idxen            // 000000004F18: E0502000 8004CAE8
	buffer_load_dword v203, v233, s[16:19], 0 idxen            // 000000004F20: E0502000 8004CBE9
	s_mul_i32 s60, 4, s7                                       // 000000004F28: 923C0784
	s_cmp_lt_i32 3, s72                                        // 000000004F2C: BF044883
	s_cselect_b32 s60, s60, 0                                  // 000000004F30: 853C803C
	v_add_u32_e32 v232, s60, v232                              // 000000004F34: 69D1D03C
	v_add_u32_e32 v233, s60, v233                              // 000000004F38: 69D3D23C
	s_waitcnt lgkmcnt(0)                                       // 000000004F3C: BF8CC07F
	s_barrier                                                  // 000000004F40: BF8A0000
	ds_read_b128 a[56:59], v25 offset:8704                     // 000000004F44: DBFE2200 38000019
	ds_read_b128 a[60:63], v25 offset:8960                     // 000000004F4C: DBFE2300 3C000019
	ds_read_b128 a[64:67], v25 offset:13056                    // 000000004F54: DBFE3300 40000019
	ds_read_b128 a[68:71], v25 offset:13312                    // 000000004F5C: DBFE3400 44000019
	ds_read_b128 a[16:19], v24                                 // 000000004F64: DBFE0000 10000018
	ds_read_b128 a[20:23], v24 offset:512                      // 000000004F6C: DBFE0200 14000018
	s_waitcnt vmcnt(16) lgkmcnt(0)                             // 000000004F74: BF8C4070
	s_barrier                                                  // 000000004F78: BF8A0000
	s_cmp_lt_i32 0, s72                                        // 000000004F7C: BF044880
	s_cbranch_scc1 label_0469                                  // 000000004F80: BF850008
	v_mov_b32_e32 v180, 0                                      // 000000004F84: 7F680280
	v_mov_b32_e32 v181, 0                                      // 000000004F88: 7F6A0280
	v_mov_b32_e32 v182, 0                                      // 000000004F8C: 7F6C0280
	v_mov_b32_e32 v183, 0                                      // 000000004F90: 7F6E0280
	v_mov_b32_e32 v184, 0                                      // 000000004F94: 7F700280
	v_mov_b32_e32 v185, 0                                      // 000000004F98: 7F720280
	v_mov_b32_e32 v186, 0                                      // 000000004F9C: 7F740280
	v_mov_b32_e32 v187, 0                                      // 000000004FA0: 7F760280

0000000000004fa4 <label_0469>:
	ds_write_b32 v13, v180                                     // 000000004FA4: D81A0000 0000B40D
	ds_write_b32 v13, v181 offset:1056                         // 000000004FAC: D81A0420 0000B50D
	ds_write_b32 v13, v182 offset:2176                         // 000000004FB4: D81A0880 0000B60D
	ds_write_b32 v13, v183 offset:3232                         // 000000004FBC: D81A0CA0 0000B70D
	ds_write_b32 v13, v184 offset:4352                         // 000000004FC4: D81A1100 0000B80D
	ds_write_b32 v13, v185 offset:5408                         // 000000004FCC: D81A1520 0000B90D
	ds_write_b32 v13, v186 offset:6528                         // 000000004FD4: D81A1980 0000BA0D
	ds_write_b32 v13, v187 offset:7584                         // 000000004FDC: D81A1DA0 0000BB0D
	s_mov_b32 s71, s5                                          // 000000004FE4: BEC70005
	v_lshrrev_b32_e32 v32, 4, v0                               // 000000004FE8: 20400084
	v_and_b32_e32 v33, 1, v32                                  // 000000004FEC: 26424081
	v_lshlrev_b32_e32 v33, 1, v33                              // 000000004FF0: 24424281
	v_mul_i32_i24_e32 v33, s71, v33                            // 000000004FF4: 0C424247
	v_and_b32_e32 v34, 2, v32                                  // 000000004FF8: 26444082
	v_lshlrev_b32_e32 v34, 5, v34                              // 000000004FFC: 24444485
	v_add_u32_e32 v33, v34, v33                                // 000000005000: 68424322
	v_and_b32_e32 v32, 15, v0                                  // 000000005004: 2640008F
	v_lshlrev_b32_e32 v32, 2, v32                              // 000000005008: 24404082
	v_add_u32_e32 v1, v32, v33                                 // 00000000500C: 68024320
	s_mul_i32 s60, s46, s71                                    // 000000005010: 923C472E
	s_mul_i32 s60, s60, 4                                      // 000000005014: 923C843C
	v_add_u32_e32 v1, s60, v1                                  // 000000005018: 6802023C
	v_add_u32_e32 v2, s71, v1                                  // 00000000501C: 68040247
	s_mul_i32 s60, 16, s71                                     // 000000005020: 923C4790
	v_add_u32_e32 v3, s60, v1                                  // 000000005024: 6806023C
	v_add_u32_e32 v4, s60, v2                                  // 000000005028: 6808043C
	s_mov_b32 s71, s51                                         // 00000000502C: BEC70033
	v_lshrrev_b32_e32 v32, 4, v0                               // 000000005030: 20400084
	v_and_b32_e32 v33, 1, v32                                  // 000000005034: 26424081
	v_lshlrev_b32_e32 v33, 1, v33                              // 000000005038: 24424281
	v_mul_i32_i24_e32 v33, s71, v33                            // 00000000503C: 0C424247
	v_and_b32_e32 v34, 2, v32                                  // 000000005040: 26444082
	v_lshlrev_b32_e32 v34, 5, v34                              // 000000005044: 24444485
	v_add_u32_e32 v33, v34, v33                                // 000000005048: 68424322
	v_and_b32_e32 v32, 15, v0                                  // 00000000504C: 2640008F
	v_lshlrev_b32_e32 v32, 2, v32                              // 000000005050: 24404082
	v_add_u32_e32 v232, v32, v33                               // 000000005054: 69D04320
	s_mul_i32 s60, s46, s71                                    // 000000005058: 923C472E
	s_mul_i32 s60, s60, 4                                      // 00000000505C: 923C843C
	v_add_u32_e32 v232, s60, v232                              // 000000005060: 69D1D03C
	v_add_u32_e32 v233, s71, v232                              // 000000005064: 69D3D047
	s_mul_i32 s60, 16, s71                                     // 000000005068: 923C4790
	v_add_u32_e32 v234, s60, v232                              // 00000000506C: 69D5D03C
	v_add_u32_e32 v235, s60, v233                              // 000000005070: 69D7D23C
	v_lshrrev_b32_e32 v1, 2, v1                                // 000000005074: 20020282
	v_lshrrev_b32_e32 v2, 2, v2                                // 000000005078: 20040482
	v_lshrrev_b32_e32 v3, 2, v3                                // 00000000507C: 20060682
	v_lshrrev_b32_e32 v4, 2, v4                                // 000000005080: 20080882
	v_lshrrev_b32_e32 v232, 2, v232                            // 000000005084: 21D1D082
	v_lshrrev_b32_e32 v233, 2, v233                            // 000000005088: 21D3D282
	v_lshrrev_b32_e32 v234, 2, v234                            // 00000000508C: 21D5D482
	v_lshrrev_b32_e32 v235, 2, v235                            // 000000005090: 21D7D682
	buffer_load_dword v36, v1, s[8:11], 0 idxen                // 000000005094: E0502000 80022401
	buffer_load_dword v37, v2, s[8:11], 0 idxen                // 00000000509C: E0502000 80022502
	buffer_load_dword v38, v3, s[8:11], 0 idxen                // 0000000050A4: E0502000 80022603
	buffer_load_dword v39, v4, s[8:11], 0 idxen                // 0000000050AC: E0502000 80022704
	buffer_load_dword v44, v232, s[20:23], 0 idxen             // 0000000050B4: E0502000 80052CE8
	buffer_load_dword v45, v233, s[20:23], 0 idxen             // 0000000050BC: E0502000 80052DE9
	buffer_load_dword v46, v234, s[20:23], 0 idxen             // 0000000050C4: E0502000 80052EEA
	buffer_load_dword v47, v235, s[20:23], 0 idxen             // 0000000050CC: E0502000 80052FEB
	s_waitcnt lgkmcnt(0)                                       // 0000000050D4: BF8CC07F
	s_barrier                                                  // 0000000050D8: BF8A0000
	ds_read_b128 a[72:75], v24                                 // 0000000050DC: DBFE0000 48000018
	ds_read_b128 a[76:79], v24 offset:512                      // 0000000050E4: DBFE0200 4C000018
	v_add_u32_e32 v1, s68, v1                                  // 0000000050EC: 68020244
	v_add_u32_e32 v2, s68, v2                                  // 0000000050F0: 68040444
	v_add_u32_e32 v3, s68, v3                                  // 0000000050F4: 68060644
	v_add_u32_e32 v4, s68, v4                                  // 0000000050F8: 68080844
	v_add_u32_e32 v232, s99, v232                              // 0000000050FC: 69D1D063
	v_add_u32_e32 v233, s99, v233                              // 000000005100: 69D3D263
	v_add_u32_e32 v234, s99, v234                              // 000000005104: 69D5D463
	v_add_u32_e32 v235, s99, v235                              // 000000005108: 69D7D663
	s_waitcnt vmcnt(16) lgkmcnt(0)                             // 00000000510C: BF8C4070
	s_barrier                                                  // 000000005110: BF8A0000
	s_cmp_lt_i32 1, s72                                        // 000000005114: BF044881
	s_cbranch_scc1 label_04CF                                  // 000000005118: BF850008
	v_mov_b32_e32 v188, 0                                      // 00000000511C: 7F780280
	v_mov_b32_e32 v189, 0                                      // 000000005120: 7F7A0280
	v_mov_b32_e32 v190, 0                                      // 000000005124: 7F7C0280
	v_mov_b32_e32 v191, 0                                      // 000000005128: 7F7E0280
	v_mov_b32_e32 v192, 0                                      // 00000000512C: 7F800280
	v_mov_b32_e32 v193, 0                                      // 000000005130: 7F820280
	v_mov_b32_e32 v194, 0                                      // 000000005134: 7F840280
	v_mov_b32_e32 v195, 0                                      // 000000005138: 7F860280

000000000000513c <label_04CF>:
	ds_write_b32 v13, v188                                     // 00000000513C: D81A0000 0000BC0D
	ds_write_b32 v13, v189 offset:1056                         // 000000005144: D81A0420 0000BD0D
	ds_write_b32 v13, v190 offset:2176                         // 00000000514C: D81A0880 0000BE0D
	ds_write_b32 v13, v191 offset:3232                         // 000000005154: D81A0CA0 0000BF0D
	ds_write_b32 v13, v192 offset:4352                         // 00000000515C: D81A1100 0000C00D
	ds_write_b32 v13, v193 offset:5408                         // 000000005164: D81A1520 0000C10D
	ds_write_b32 v13, v194 offset:6528                         // 00000000516C: D81A1980 0000C20D
	ds_write_b32 v13, v195 offset:7584                         // 000000005174: D81A1DA0 0000C30D
	buffer_load_dword v40, v1, s[8:11], 0 idxen                // 00000000517C: E0502000 80022801
	buffer_load_dword v41, v2, s[8:11], 0 idxen                // 000000005184: E0502000 80022902
	buffer_load_dword v42, v3, s[8:11], 0 idxen                // 00000000518C: E0502000 80022A03
	buffer_load_dword v43, v4, s[8:11], 0 idxen                // 000000005194: E0502000 80022B04
	buffer_load_dword v48, v232, s[20:23], 0 idxen             // 00000000519C: E0502000 800530E8
	buffer_load_dword v49, v233, s[20:23], 0 idxen             // 0000000051A4: E0502000 800531E9
	buffer_load_dword v50, v234, s[20:23], 0 idxen             // 0000000051AC: E0502000 800532EA
	buffer_load_dword v51, v235, s[20:23], 0 idxen             // 0000000051B4: E0502000 800533EB
	s_waitcnt lgkmcnt(0)                                       // 0000000051BC: BF8CC07F
	s_barrier                                                  // 0000000051C0: BF8A0000
	ds_read_b128 a[80:83], v24                                 // 0000000051C4: DBFE0000 50000018
	ds_read_b128 a[84:87], v24 offset:512                      // 0000000051CC: DBFE0200 54000018
	s_add_u32 s60, 64, s59                                     // 0000000051D4: 803C3BC0
	s_cmp_lt_u32 s60, s58                                      // 0000000051D8: BF0A3A3C
	s_cselect_b32 s68, s68, 0                                  // 0000000051DC: 85448044
	s_cselect_b32 s99, s99, 0                                  // 0000000051E0: 85638063
	v_add_u32_e32 v1, s68, v1                                  // 0000000051E4: 68020244
	v_add_u32_e32 v2, s68, v2                                  // 0000000051E8: 68040444
	v_add_u32_e32 v3, s68, v3                                  // 0000000051EC: 68060644
	v_add_u32_e32 v4, s68, v4                                  // 0000000051F0: 68080844
	v_add_u32_e32 v232, s99, v232                              // 0000000051F4: 69D1D063
	v_add_u32_e32 v233, s99, v233                              // 0000000051F8: 69D3D263
	v_add_u32_e32 v234, s99, v234                              // 0000000051FC: 69D5D463
	v_add_u32_e32 v235, s99, v235                              // 000000005200: 69D7D663
	s_waitcnt vmcnt(16) lgkmcnt(0)                             // 000000005204: BF8C4070
	s_barrier                                                  // 000000005208: BF8A0000
	s_cmp_lt_i32 2, s72                                        // 00000000520C: BF044882
	s_cbranch_scc1 label_050D                                  // 000000005210: BF850008
	v_mov_b32_e32 v196, 0                                      // 000000005214: 7F880280
	v_mov_b32_e32 v197, 0                                      // 000000005218: 7F8A0280
	v_mov_b32_e32 v198, 0                                      // 00000000521C: 7F8C0280
	v_mov_b32_e32 v199, 0                                      // 000000005220: 7F8E0280
	v_mov_b32_e32 v200, 0                                      // 000000005224: 7F900280
	v_mov_b32_e32 v201, 0                                      // 000000005228: 7F920280
	v_mov_b32_e32 v202, 0                                      // 00000000522C: 7F940280
	v_mov_b32_e32 v203, 0                                      // 000000005230: 7F960280

0000000000005234 <label_050D>:
	ds_write_b32 v13, v196                                     // 000000005234: D81A0000 0000C40D
	ds_write_b32 v13, v197 offset:1056                         // 00000000523C: D81A0420 0000C50D
	ds_write_b32 v13, v198 offset:2176                         // 000000005244: D81A0880 0000C60D
	ds_write_b32 v13, v199 offset:3232                         // 00000000524C: D81A0CA0 0000C70D
	ds_write_b32 v13, v200 offset:4352                         // 000000005254: D81A1100 0000C80D
	ds_write_b32 v13, v201 offset:5408                         // 00000000525C: D81A1520 0000C90D
	ds_write_b32 v13, v202 offset:6528                         // 000000005264: D81A1980 0000CA0D
	ds_write_b32 v13, v203 offset:7584                         // 00000000526C: D81A1DA0 0000CB0D
	s_waitcnt lgkmcnt(0)                                       // 000000005274: BF8CC07F
	s_barrier                                                  // 000000005278: BF8A0000
	ds_read_b128 a[88:91], v24                                 // 00000000527C: DBFE0000 58000018
	ds_read_b128 a[92:95], v24 offset:512                      // 000000005284: DBFE0200 5C000018
	s_waitcnt vmcnt(8) lgkmcnt(0)                              // 00000000528C: BF8C0078
	s_barrier                                                  // 000000005290: BF8A0000
	buffer_load_dword v11, s[24:27], 0 idxen lds               // 000000005294: E0512000 8006000B
	s_mov_b32 m0, s81                                          // 00000000529C: BEFC0051
	v_add_u32_e32 v11, s69, v11                                // 0000000052A0: 68161645
	v_perm_b32 v100, v37, v36, s63                             // 0000000052A4: D1ED0064 00FE4925
	v_perm_b32 v101, v37, v36, s64                             // 0000000052AC: D1ED0065 01024925
	v_perm_b32 v102, v39, v38, s63                             // 0000000052B4: D1ED0066 00FE4D27
	v_perm_b32 v103, v39, v38, s64                             // 0000000052BC: D1ED0067 01024D27
	ds_write_b32 v15, v100 offset:4352                         // 0000000052C4: D81A1100 0000640F
	ds_write_b32 v15, v101 offset:5408                         // 0000000052CC: D81A1520 0000650F
	ds_write_b32 v15, v102 offset:6528                         // 0000000052D4: D81A1980 0000660F
	ds_write_b32 v15, v103 offset:7584                         // 0000000052DC: D81A1DA0 0000670F
	ds_write_b32 v13, v36                                      // 0000000052E4: D81A0000 0000240D
	ds_write_b32 v13, v37 offset:1056                          // 0000000052EC: D81A0420 0000250D
	ds_write_b32 v13, v38 offset:2176                          // 0000000052F4: D81A0880 0000260D
	ds_write_b32 v13, v39 offset:3232                          // 0000000052FC: D81A0CA0 0000270D
	buffer_load_dword v11, s[24:27], 0 idxen lds               // 000000005304: E0512000 8006000B
	s_add_u32 s60, 64, s59                                     // 00000000530C: 803C3BC0
	s_cmp_lt_u32 s60, s58                                      // 000000005310: BF0A3A3C
	s_cselect_b32 s69, s69, 0                                  // 000000005314: 85458045
	s_mov_b32 m0, s80                                          // 000000005318: BEFC0050
	v_add_u32_e32 v11, s69, v11                                // 00000000531C: 68161645
	v_perm_b32 v104, v45, v44, s63                             // 000000005320: D1ED0068 00FE592D
	v_perm_b32 v105, v45, v44, s64                             // 000000005328: D1ED0069 0102592D
	v_perm_b32 v106, v47, v46, s63                             // 000000005330: D1ED006A 00FE5D2F
	v_perm_b32 v107, v47, v46, s64                             // 000000005338: D1ED006B 01025D2F
	ds_write_b32 v15, v104 offset:13056                        // 000000005340: D81A3300 0000680F
	ds_write_b32 v15, v105 offset:14112                        // 000000005348: D81A3720 0000690F
	ds_write_b32 v15, v106 offset:15232                        // 000000005350: D81A3B80 00006A0F
	ds_write_b32 v15, v107 offset:16288                        // 000000005358: D81A3FA0 00006B0F
	ds_write_b32 v13, v44 offset:8704                          // 000000005360: D81A2200 00002C0D
	ds_write_b32 v13, v45 offset:9760                          // 000000005368: D81A2620 00002D0D
	ds_write_b32 v13, v46 offset:10880                         // 000000005370: D81A2A80 00002E0D
	ds_write_b32 v13, v47 offset:11936                         // 000000005378: D81A2EA0 00002F0D
	s_waitcnt vmcnt(1) lgkmcnt(0)                              // 000000005380: BF8C0071
	s_barrier                                                  // 000000005384: BF8A0000
	ds_read_b128 a[96:99], v12                                 // 000000005388: DBFE0000 6000000C
	ds_read_b128 a[100:103], v12 offset:512                    // 000000005390: DBFE0200 6400000C
	ds_read_b128 a[104:107], v12 offset:2176                   // 000000005398: DBFE0880 6800000C
	ds_read_b128 a[108:111], v12 offset:2688                   // 0000000053A0: DBFE0A80 6C00000C
	ds_read_b128 v[108:111], v12 offset:8704                   // 0000000053A8: D9FE2200 6C00000C
	ds_read_b128 v[112:115], v12 offset:9216                   // 0000000053B0: D9FE2400 7000000C
	ds_read_b128 v[116:119], v12 offset:10880                  // 0000000053B8: D9FE2A80 7400000C
	ds_read_b128 v[120:123], v12 offset:11392                  // 0000000053C0: D9FE2C80 7800000C
	ds_read_b32 v140, v23 offset:39424                         // 0000000053C8: D86C9A00 8C000017
	ds_read_b32 v144, v23 offset:39488                         // 0000000053D0: D86C9A40 90000017
	ds_read_b32 v176, v23 offset:39680                         // 0000000053D8: D86C9B00 B0000017
	ds_read_b32 v177, v23 offset:39744                         // 0000000053E0: D86C9B40 B1000017
	v_accvgpr_write_b32 a112, 0                                // 0000000053E8: D3D94070 18000080
	v_mov_b32_e32 v180, 0                                      // 0000000053F0: 7F680280
	v_accvgpr_write_b32 a113, 0                                // 0000000053F4: D3D94071 18000080
	v_mov_b32_e32 v181, 0                                      // 0000000053FC: 7F6A0280
	v_accvgpr_write_b32 a114, 0                                // 000000005400: D3D94072 18000080
	v_mov_b32_e32 v182, 0                                      // 000000005408: 7F6C0280
	v_accvgpr_write_b32 a115, 0                                // 00000000540C: D3D94073 18000080
	v_mov_b32_e32 v183, 0                                      // 000000005414: 7F6E0280
	v_accvgpr_write_b32 a116, 0                                // 000000005418: D3D94074 18000080
	v_mov_b32_e32 v184, 0                                      // 000000005420: 7F700280
	v_accvgpr_write_b32 a117, 0                                // 000000005424: D3D94075 18000080
	v_mov_b32_e32 v185, 0                                      // 00000000542C: 7F720280
	v_accvgpr_write_b32 a118, 0                                // 000000005430: D3D94076 18000080
	v_mov_b32_e32 v186, 0                                      // 000000005438: 7F740280
	v_accvgpr_write_b32 a119, 0                                // 00000000543C: D3D94077 18000080
	v_mov_b32_e32 v187, 0                                      // 000000005444: 7F760280
	v_accvgpr_write_b32 a120, 0                                // 000000005448: D3D94078 18000080
	v_mov_b32_e32 v188, 0                                      // 000000005450: 7F780280
	v_accvgpr_write_b32 a121, 0                                // 000000005454: D3D94079 18000080
	v_mov_b32_e32 v189, 0                                      // 00000000545C: 7F7A0280
	v_accvgpr_write_b32 a122, 0                                // 000000005460: D3D9407A 18000080
	v_mov_b32_e32 v190, 0                                      // 000000005468: 7F7C0280
	v_accvgpr_write_b32 a123, 0                                // 00000000546C: D3D9407B 18000080
	v_mov_b32_e32 v191, 0                                      // 000000005474: 7F7E0280
	v_accvgpr_write_b32 a124, 0                                // 000000005478: D3D9407C 18000080
	v_mov_b32_e32 v192, 0                                      // 000000005480: 7F800280
	v_accvgpr_write_b32 a125, 0                                // 000000005484: D3D9407D 18000080
	v_mov_b32_e32 v193, 0                                      // 00000000548C: 7F820280
	v_accvgpr_write_b32 a126, 0                                // 000000005490: D3D9407E 18000080
	v_mov_b32_e32 v194, 0                                      // 000000005498: 7F840280
	v_accvgpr_write_b32 a127, 0                                // 00000000549C: D3D9407F 18000080
	v_mov_b32_e32 v195, 0                                      // 0000000054A4: 7F860280
	v_accvgpr_write_b32 a128, 0                                // 0000000054A8: D3D94080 18000080
	v_mov_b32_e32 v196, 0                                      // 0000000054B0: 7F880280
	v_accvgpr_write_b32 a129, 0                                // 0000000054B4: D3D94081 18000080
	v_mov_b32_e32 v197, 0                                      // 0000000054BC: 7F8A0280
	v_accvgpr_write_b32 a130, 0                                // 0000000054C0: D3D94082 18000080
	v_mov_b32_e32 v198, 0                                      // 0000000054C8: 7F8C0280
	v_accvgpr_write_b32 a131, 0                                // 0000000054CC: D3D94083 18000080
	v_mov_b32_e32 v199, 0                                      // 0000000054D4: 7F8E0280
	v_accvgpr_write_b32 a132, 0                                // 0000000054D8: D3D94084 18000080
	v_mov_b32_e32 v200, 0                                      // 0000000054E0: 7F900280
	v_accvgpr_write_b32 a133, 0                                // 0000000054E4: D3D94085 18000080
	v_mov_b32_e32 v201, 0                                      // 0000000054EC: 7F920280
	v_accvgpr_write_b32 a134, 0                                // 0000000054F0: D3D94086 18000080
	v_mov_b32_e32 v202, 0                                      // 0000000054F8: 7F940280
	v_accvgpr_write_b32 a135, 0                                // 0000000054FC: D3D94087 18000080
	v_mov_b32_e32 v203, 0                                      // 000000005504: 7F960280
	v_accvgpr_write_b32 a136, 0                                // 000000005508: D3D94088 18000080
	v_mov_b32_e32 v204, 0                                      // 000000005510: 7F980280
	v_accvgpr_write_b32 a137, 0                                // 000000005514: D3D94089 18000080
	v_mov_b32_e32 v205, 0                                      // 00000000551C: 7F9A0280
	v_accvgpr_write_b32 a138, 0                                // 000000005520: D3D9408A 18000080
	v_mov_b32_e32 v206, 0                                      // 000000005528: 7F9C0280
	v_accvgpr_write_b32 a139, 0                                // 00000000552C: D3D9408B 18000080
	v_mov_b32_e32 v207, 0                                      // 000000005534: 7F9E0280
	v_accvgpr_write_b32 a140, 0                                // 000000005538: D3D9408C 18000080
	v_mov_b32_e32 v208, 0                                      // 000000005540: 7FA00280
	v_accvgpr_write_b32 a141, 0                                // 000000005544: D3D9408D 18000080
	v_mov_b32_e32 v209, 0                                      // 00000000554C: 7FA20280
	v_accvgpr_write_b32 a142, 0                                // 000000005550: D3D9408E 18000080
	v_mov_b32_e32 v210, 0                                      // 000000005558: 7FA40280
	v_accvgpr_write_b32 a143, 0                                // 00000000555C: D3D9408F 18000080
	v_mov_b32_e32 v211, 0                                      // 000000005564: 7FA60280
	v_accvgpr_write_b32 a144, 0                                // 000000005568: D3D94090 18000080
	v_mov_b32_e32 v212, 0                                      // 000000005570: 7FA80280
	v_accvgpr_write_b32 a145, 0                                // 000000005574: D3D94091 18000080
	v_mov_b32_e32 v213, 0                                      // 00000000557C: 7FAA0280
	v_accvgpr_write_b32 a146, 0                                // 000000005580: D3D94092 18000080
	v_mov_b32_e32 v214, 0                                      // 000000005588: 7FAC0280
	v_accvgpr_write_b32 a147, 0                                // 00000000558C: D3D94093 18000080
	v_mov_b32_e32 v215, 0                                      // 000000005594: 7FAE0280
	v_accvgpr_write_b32 a148, 0                                // 000000005598: D3D94094 18000080
	v_mov_b32_e32 v216, 0                                      // 0000000055A0: 7FB00280
	v_accvgpr_write_b32 a149, 0                                // 0000000055A4: D3D94095 18000080
	v_mov_b32_e32 v217, 0                                      // 0000000055AC: 7FB20280
	v_accvgpr_write_b32 a150, 0                                // 0000000055B0: D3D94096 18000080
	v_mov_b32_e32 v218, 0                                      // 0000000055B8: 7FB40280
	v_accvgpr_write_b32 a151, 0                                // 0000000055BC: D3D94097 18000080
	v_mov_b32_e32 v219, 0                                      // 0000000055C4: 7FB60280
	v_accvgpr_write_b32 a152, 0                                // 0000000055C8: D3D94098 18000080
	v_mov_b32_e32 v220, 0                                      // 0000000055D0: 7FB80280
	v_accvgpr_write_b32 a153, 0                                // 0000000055D4: D3D94099 18000080
	v_mov_b32_e32 v221, 0                                      // 0000000055DC: 7FBA0280
	v_accvgpr_write_b32 a154, 0                                // 0000000055E0: D3D9409A 18000080
	v_mov_b32_e32 v222, 0                                      // 0000000055E8: 7FBC0280
	v_accvgpr_write_b32 a155, 0                                // 0000000055EC: D3D9409B 18000080
	v_mov_b32_e32 v223, 0                                      // 0000000055F4: 7FBE0280
	v_accvgpr_write_b32 a156, 0                                // 0000000055F8: D3D9409C 18000080
	v_mov_b32_e32 v224, 0                                      // 000000005600: 7FC00280
	v_accvgpr_write_b32 a157, 0                                // 000000005604: D3D9409D 18000080
	v_mov_b32_e32 v225, 0                                      // 00000000560C: 7FC20280
	v_accvgpr_write_b32 a158, 0                                // 000000005610: D3D9409E 18000080
	v_mov_b32_e32 v226, 0                                      // 000000005618: 7FC40280
	v_accvgpr_write_b32 a159, 0                                // 00000000561C: D3D9409F 18000080
	v_mov_b32_e32 v227, 0                                      // 000000005624: 7FC60280
	v_mov_b32_e32 v156, 0                                      // 000000005628: 7F380280
	v_mov_b32_e32 v157, 0                                      // 00000000562C: 7F3A0280
	v_mov_b32_e32 v158, 0                                      // 000000005630: 7F3C0280
	v_mov_b32_e32 v159, 0                                      // 000000005634: 7F3E0280
	v_mov_b32_e32 v160, 0                                      // 000000005638: 7F400280
	v_mov_b32_e32 v161, 0                                      // 00000000563C: 7F420280
	v_mov_b32_e32 v162, 0                                      // 000000005640: 7F440280
	v_mov_b32_e32 v163, 0                                      // 000000005644: 7F460280
	v_mov_b32_e32 v148, 0                                      // 000000005648: 7F280280
	v_mov_b32_e32 v149, 0                                      // 00000000564C: 7F2A0280
	v_mov_b32_e32 v150, 0                                      // 000000005650: 7F2C0280
	v_mov_b32_e32 v151, 0                                      // 000000005654: 7F2E0280
	v_mov_b32_e32 v152, 0                                      // 000000005658: 7F300280
	v_mov_b32_e32 v153, 0                                      // 00000000565C: 7F320280
	v_mov_b32_e32 v154, 0                                      // 000000005660: 7F340280
	v_mov_b32_e32 v155, 0                                      // 000000005664: 7F360280
	s_waitcnt lgkmcnt(0)                                       // 000000005668: BF8CC07F
	s_barrier                                                  // 00000000566C: BF8A0000
	buffer_load_dword v36, v1, s[8:11], 0 idxen                // 000000005670: E0502000 80022401
	buffer_load_dword v37, v2, s[8:11], 0 idxen                // 000000005678: E0502000 80022502
	;; [unrolled: 1-line block ×4, first 2 shown]
	buffer_load_dword v44, v232, s[20:23], 0 idxen             // 000000005690: E0502000 80052CE8
	buffer_load_dword v45, v233, s[20:23], 0 idxen             // 000000005698: E0502000 80052DE9
	buffer_load_dword v46, v234, s[20:23], 0 idxen             // 0000000056A0: E0502000 80052EEA
	buffer_load_dword v47, v235, s[20:23], 0 idxen             // 0000000056A8: E0502000 80052FEB
	buffer_load_dword v11, s[24:27], 0 idxen lds               // 0000000056B0: E0512000 8006000B
	s_add_u32 s60, 0x60, s59                                   // 0000000056B8: 803C3BFF 00000060
	s_cmp_lt_u32 s60, s58                                      // 0000000056C0: BF0A3A3C
	s_cselect_b32 s68, s68, 0                                  // 0000000056C4: 85448044
	s_cselect_b32 s99, s99, 0                                  // 0000000056C8: 85638063
	s_cselect_b32 s69, s69, 0                                  // 0000000056CC: 85458045
	s_mov_b32 m0, s81                                          // 0000000056D0: BEFC0051
	v_add_u32_e32 v11, s69, v11                                // 0000000056D4: 68161645
	v_add_u32_e32 v1, s68, v1                                  // 0000000056D8: 68020244
	v_add_u32_e32 v2, s68, v2                                  // 0000000056DC: 68040444
	v_add_u32_e32 v3, s68, v3                                  // 0000000056E0: 68060644
	v_add_u32_e32 v4, s68, v4                                  // 0000000056E4: 68080844
	v_add_u32_e32 v232, s99, v232                              // 0000000056E8: 69D1D063
	v_add_u32_e32 v233, s99, v233                              // 0000000056EC: 69D3D263
	v_add_u32_e32 v234, s99, v234                              // 0000000056F0: 69D5D463
	v_add_u32_e32 v235, s99, v235                              // 0000000056F4: 69D7D663
	v_mul_f32_e32 v140, s48, v140                              // 0000000056F8: 0B191830
	v_mul_f32_e32 v144, s48, v144                              // 0000000056FC: 0B212030
	v_perm_b32 v100, v41, v40, s63                             // 000000005700: D1ED0064 00FE5129
	v_perm_b32 v101, v41, v40, s64                             // 000000005708: D1ED0065 01025129
	v_perm_b32 v102, v43, v42, s63                             // 000000005710: D1ED0066 00FE552B
	v_perm_b32 v103, v43, v42, s64                             // 000000005718: D1ED0067 0102552B
	v_perm_b32 v104, v49, v48, s63                             // 000000005720: D1ED0068 00FE6131
	v_perm_b32 v105, v49, v48, s64                             // 000000005728: D1ED0069 01026131
	v_perm_b32 v106, v51, v50, s63                             // 000000005730: D1ED006A 00FE6533
	v_perm_b32 v107, v51, v50, s64                             // 000000005738: D1ED006B 01026533
	v_mov_b32_dpp v143, v140 quad_perm:[3,3,3,3] row_mask:0xf bank_mask:0xf// 000000005740: 7F1E02FA FF00FF8C
	v_mov_b32_dpp v142, v140 quad_perm:[2,2,2,2] row_mask:0xf bank_mask:0xf// 000000005748: 7F1C02FA FF00AA8C
	v_mov_b32_dpp v141, v140 quad_perm:[1,1,1,1] row_mask:0xf bank_mask:0xf// 000000005750: 7F1A02FA FF00558C
	v_mov_b32_dpp v140, v140 quad_perm:[0,0,0,0] row_mask:0xf bank_mask:0xf// 000000005758: 7F1802FA FF00008C
	v_mov_b32_dpp v147, v144 quad_perm:[3,3,3,3] row_mask:0xf bank_mask:0xf// 000000005760: 7F2602FA FF00FF90
	v_mov_b32_dpp v146, v144 quad_perm:[2,2,2,2] row_mask:0xf bank_mask:0xf// 000000005768: 7F2402FA FF00AA90
	v_mov_b32_dpp v145, v144 quad_perm:[1,1,1,1] row_mask:0xf bank_mask:0xf// 000000005770: 7F2202FA FF005590
	v_mov_b32_dpp v144, v144 quad_perm:[0,0,0,0] row_mask:0xf bank_mask:0xf// 000000005778: 7F2002FA FF000090
	s_waitcnt vmcnt(9)                                         // 000000005780: BF8C0F79
	s_barrier                                                  // 000000005784: BF8A0000
	s_cmp_lt_i32 s46, 2                                        // 000000005788: BF04822E
	s_cbranch_scc0 label_1044                                  // 00000000578C: BF8409CE
	s_nop 0                                                    // 000000005790: BF800000
	s_nop 0                                                    // 000000005794: BF800000

0000000000005798 <label_0666>:
	s_waitcnt lgkmcnt(0)                                       // 000000005798: BF8CC07F
	s_barrier                                                  // 00000000579C: BF8A0000
	v_mfma_f32_16x16x16_bf16 v[52:55], a[96:97], a[0:1], 0     // 0000000057A0: D3E10034 1A020160
	ds_write_b32 v13, v48 offset:8704                          // 0000000057A8: D81A2200 0000300D
	ds_write_b32 v13, v49 offset:9760                          // 0000000057B0: D81A2620 0000310D
	v_mfma_f32_16x16x16_bf16 v[52:55], a[98:99], a[2:3], v[52:55]// 0000000057B8: D3E10034 1CD20562
	v_mul_f32_e32 v148, s47, v148                              // 0000000057C0: 0B29282F
	v_mul_f32_e32 v149, s47, v149                              // 0000000057C4: 0B2B2A2F
	v_mfma_f32_16x16x16_bf16 v[52:55], a[100:101], a[4:5], v[52:55]// 0000000057C8: D3E10034 1CD20964
	ds_write_b32 v13, v50 offset:10880                         // 0000000057D0: D81A2A80 0000320D
	ds_write_b32 v13, v51 offset:11936                         // 0000000057D8: D81A2EA0 0000330D
	v_mfma_f32_16x16x16_bf16 v[52:55], a[102:103], a[6:7], v[52:55]// 0000000057E0: D3E10034 1CD20D66
	v_mul_f32_e32 v150, s47, v150                              // 0000000057E8: 0B2D2C2F
	v_mul_f32_e32 v151, s47, v151                              // 0000000057EC: 0B2F2E2F
	v_mfma_f32_16x16x16_bf16 v[56:59], a[96:97], a[8:9], 0     // 0000000057F0: D3E10038 1A021160
	ds_write_b64 v22, v[148:149] offset:31232                  // 0000000057F8: D89A7A00 00009416
	v_mfma_f32_16x16x16_bf16 v[56:59], a[98:99], a[10:11], v[56:59]// 000000005800: D3E10038 1CE21562
	v_mul_f32_e32 v152, s47, v152                              // 000000005808: 0B31302F
	v_mul_f32_e32 v153, s47, v153                              // 00000000580C: 0B33322F
	v_mfma_f32_16x16x16_bf16 v[56:59], a[100:101], a[12:13], v[56:59]// 000000005810: D3E10038 1CE21964
	ds_write_b64 v22, v[150:151] offset:31744                  // 000000005818: D89A7C00 00009616
	v_mfma_f32_16x16x16_bf16 v[56:59], a[102:103], a[14:15], v[56:59]// 000000005820: D3E10038 1CE21D66
	v_mul_f32_e32 v154, s47, v154                              // 000000005828: 0B35342F
	v_mul_f32_e32 v155, s47, v155                              // 00000000582C: 0B37362F
	v_mfma_f32_16x16x16_bf16 v[60:63], a[96:97], a[16:17], 0   // 000000005830: D3E1003C 1A022160
	ds_write_b64 v22, v[152:153] offset:32256                  // 000000005838: D89A7E00 00009816
	v_mfma_f32_16x16x16_bf16 v[60:63], a[98:99], a[18:19], v[60:63]// 000000005840: D3E1003C 1CF22562
	buffer_atomic_add_f32 v160, v8, s[32:35], 0 idxen          // 000000005848: E1342000 8008A008
	v_mfma_f32_16x16x16_bf16 v[60:63], a[100:101], a[20:21], v[60:63]// 000000005850: D3E1003C 1CF22964
	ds_write_b64 v22, v[154:155] offset:32768                  // 000000005858: D89A8000 00009A16
	v_mfma_f32_16x16x16_bf16 v[60:63], a[102:103], a[22:23], v[60:63]// 000000005860: D3E1003C 1CF22D66
	v_mfma_f32_16x16x16_bf16 v[64:67], a[104:105], a[0:1], 0   // 000000005868: D3E10040 1A020168
	ds_read_b128 v[124:127], v14 offset:13056                  // 000000005870: D9FE3300 7C00000E
	ds_write_b32 v13, v40                                      // 000000005878: D81A0000 0000280D
	v_mfma_f32_16x16x16_bf16 v[64:67], a[106:107], a[2:3], v[64:67]// 000000005880: D3E10040 1D02056A
	buffer_atomic_add_f32 v161, v9, s[32:35], 0 idxen          // 000000005888: E1342000 8008A109
	v_mfma_f32_16x16x16_bf16 v[64:67], a[108:109], a[4:5], v[64:67]// 000000005890: D3E10040 1D02096C
	v_mfma_f32_16x16x16_bf16 v[64:67], a[110:111], a[6:7], v[64:67]// 000000005898: D3E10040 1D020D6E
	ds_read_b128 v[128:131], v14 offset:13568                  // 0000000058A0: D9FE3500 8000000E
	ds_write_b32 v13, v41 offset:1056                          // 0000000058A8: D81A0420 0000290D
	v_mfma_f32_16x16x16_bf16 v[68:71], a[104:105], a[8:9], 0   // 0000000058B0: D3E10044 1A021168
	buffer_atomic_add_f32 v162, v8, s[32:35], 0 idxen offset:128// 0000000058B8: E1342080 8008A208
	v_mfma_f32_16x16x16_bf16 v[68:71], a[106:107], a[10:11], v[68:71]// 0000000058C0: D3E10044 1D12156A
	v_mfma_f32_16x16x16_bf16 v[68:71], a[108:109], a[12:13], v[68:71]// 0000000058C8: D3E10044 1D12196C
	ds_read_b128 v[132:135], v14 offset:15232                  // 0000000058D0: D9FE3B80 8400000E
	ds_write_b32 v13, v42 offset:2176                          // 0000000058D8: D81A0880 00002A0D
	v_mfma_f32_16x16x16_bf16 v[68:71], a[110:111], a[14:15], v[68:71]// 0000000058E0: D3E10044 1D121D6E
	v_mfma_f32_16x16x16_bf16 v[72:75], a[104:105], a[16:17], 0 // 0000000058E8: D3E10048 1A022168
	buffer_atomic_add_f32 v163, v9, s[32:35], 0 idxen offset:128// 0000000058F0: E1342080 8008A309
	v_mfma_f32_16x16x16_bf16 v[72:75], a[106:107], a[18:19], v[72:75]// 0000000058F8: D3E10048 1D22256A
	ds_read_b128 v[136:139], v14 offset:15744                  // 000000005900: D9FE3D80 8800000E
	ds_write_b32 v13, v43 offset:3232                          // 000000005908: D81A0CA0 00002B0D
	v_mfma_f32_16x16x16_bf16 v[72:75], a[108:109], a[20:21], v[72:75]// 000000005910: D3E10048 1D22296C
	v_mfma_f32_16x16x16_bf16 v[72:75], a[110:111], a[22:23], v[72:75]// 000000005918: D3E10048 1D222D6E
	s_cmp_eq_i32 s94, 0                                        // 000000005920: BF00805E
	s_cbranch_scc1 label_07C3                                  // 000000005924: BF8500F0
	s_cmp_lt_i32 s74, 6                                        // 000000005928: BF04864A
	s_cbranch_scc0 label_074A                                  // 00000000592C: BF84007E
	s_lshl_b32 s60, s74, 5                                     // 000000005930: 8E3C854A
	s_lshl_b32 s61, 0, 4                                       // 000000005934: 8E3D8480
	s_add_i32 s60, s60, s61                                    // 000000005938: 813C3D3C
	v_sub_i32 v32, v236, s60                                   // 00000000593C: D29D0020 000079EC
	s_mov_b32 s61, 0                                           // 000000005944: BEBD0080
	v_add_i32 v33, v32, s61                                    // 000000005948: D29C0021 00007B20
	v_cmp_gt_i32_e64 s[90:91], v33, 0                          // 000000005950: D0C4005A 00010121
	v_cmp_gt_i32_e64 s[92:93], v33, 1                          // 000000005958: D0C4005C 00010321
	v_cndmask_b32_e64 v52, v52, v178, s[90:91]                 // 000000005960: D1000034 016B6534
	v_cndmask_b32_e64 v53, v53, v178, s[92:93]                 // 000000005968: D1000035 01736535
	v_cmp_gt_i32_e64 s[90:91], v33, 2                          // 000000005970: D0C4005A 00010521
	v_cmp_gt_i32_e64 s[92:93], v33, 3                          // 000000005978: D0C4005C 00010721
	v_cndmask_b32_e64 v54, v54, v178, s[90:91]                 // 000000005980: D1000036 016B6536
	v_cndmask_b32_e64 v55, v55, v178, s[92:93]                 // 000000005988: D1000037 01736537
	s_mov_b32 s61, 64                                          // 000000005990: BEBD00C0
	v_add_i32 v33, v32, s61                                    // 000000005994: D29C0021 00007B20
	v_cmp_gt_i32_e64 s[90:91], v33, 0                          // 00000000599C: D0C4005A 00010121
	v_cmp_gt_i32_e64 s[92:93], v33, 1                          // 0000000059A4: D0C4005C 00010321
	v_cndmask_b32_e64 v56, v56, v178, s[90:91]                 // 0000000059AC: D1000038 016B6538
	v_cndmask_b32_e64 v57, v57, v178, s[92:93]                 // 0000000059B4: D1000039 01736539
	v_cmp_gt_i32_e64 s[90:91], v33, 2                          // 0000000059BC: D0C4005A 00010521
	v_cmp_gt_i32_e64 s[92:93], v33, 3                          // 0000000059C4: D0C4005C 00010721
	v_cndmask_b32_e64 v58, v58, v178, s[90:91]                 // 0000000059CC: D100003A 016B653A
	v_cndmask_b32_e64 v59, v59, v178, s[92:93]                 // 0000000059D4: D100003B 0173653B
	s_mov_b32 s61, 0x80                                        // 0000000059DC: BEBD00FF 00000080
	v_add_i32 v33, v32, s61                                    // 0000000059E4: D29C0021 00007B20
	v_cmp_gt_i32_e64 s[90:91], v33, 0                          // 0000000059EC: D0C4005A 00010121
	v_cmp_gt_i32_e64 s[92:93], v33, 1                          // 0000000059F4: D0C4005C 00010321
	v_cndmask_b32_e64 v60, v60, v178, s[90:91]                 // 0000000059FC: D100003C 016B653C
	v_cndmask_b32_e64 v61, v61, v178, s[92:93]                 // 000000005A04: D100003D 0173653D
	v_cmp_gt_i32_e64 s[90:91], v33, 2                          // 000000005A0C: D0C4005A 00010521
	v_cmp_gt_i32_e64 s[92:93], v33, 3                          // 000000005A14: D0C4005C 00010721
	v_cndmask_b32_e64 v62, v62, v178, s[90:91]                 // 000000005A1C: D100003E 016B653E
	v_cndmask_b32_e64 v63, v63, v178, s[92:93]                 // 000000005A24: D100003F 0173653F
	s_lshl_b32 s60, s74, 5                                     // 000000005A2C: 8E3C854A
	s_lshl_b32 s61, 1, 4                                       // 000000005A30: 8E3D8481
	s_add_i32 s60, s60, s61                                    // 000000005A34: 813C3D3C
	v_sub_i32 v32, v236, s60                                   // 000000005A38: D29D0020 000079EC
	s_mov_b32 s61, 0                                           // 000000005A40: BEBD0080
	v_add_i32 v33, v32, s61                                    // 000000005A44: D29C0021 00007B20
	v_cmp_gt_i32_e64 s[90:91], v33, 0                          // 000000005A4C: D0C4005A 00010121
	v_cmp_gt_i32_e64 s[92:93], v33, 1                          // 000000005A54: D0C4005C 00010321
	v_cndmask_b32_e64 v64, v64, v178, s[90:91]                 // 000000005A5C: D1000040 016B6540
	v_cndmask_b32_e64 v65, v65, v178, s[92:93]                 // 000000005A64: D1000041 01736541
	v_cmp_gt_i32_e64 s[90:91], v33, 2                          // 000000005A6C: D0C4005A 00010521
	v_cmp_gt_i32_e64 s[92:93], v33, 3                          // 000000005A74: D0C4005C 00010721
	v_cndmask_b32_e64 v66, v66, v178, s[90:91]                 // 000000005A7C: D1000042 016B6542
	v_cndmask_b32_e64 v67, v67, v178, s[92:93]                 // 000000005A84: D1000043 01736543
	s_mov_b32 s61, 64                                          // 000000005A8C: BEBD00C0
	v_add_i32 v33, v32, s61                                    // 000000005A90: D29C0021 00007B20
	v_cmp_gt_i32_e64 s[90:91], v33, 0                          // 000000005A98: D0C4005A 00010121
	v_cmp_gt_i32_e64 s[92:93], v33, 1                          // 000000005AA0: D0C4005C 00010321
	v_cndmask_b32_e64 v68, v68, v178, s[90:91]                 // 000000005AA8: D1000044 016B6544
	v_cndmask_b32_e64 v69, v69, v178, s[92:93]                 // 000000005AB0: D1000045 01736545
	v_cmp_gt_i32_e64 s[90:91], v33, 2                          // 000000005AB8: D0C4005A 00010521
	v_cmp_gt_i32_e64 s[92:93], v33, 3                          // 000000005AC0: D0C4005C 00010721
	v_cndmask_b32_e64 v70, v70, v178, s[90:91]                 // 000000005AC8: D1000046 016B6546
	v_cndmask_b32_e64 v71, v71, v178, s[92:93]                 // 000000005AD0: D1000047 01736547
	s_mov_b32 s61, 0x80                                        // 000000005AD8: BEBD00FF 00000080
	v_add_i32 v33, v32, s61                                    // 000000005AE0: D29C0021 00007B20
	v_cmp_gt_i32_e64 s[90:91], v33, 0                          // 000000005AE8: D0C4005A 00010121
	v_cmp_gt_i32_e64 s[92:93], v33, 1                          // 000000005AF0: D0C4005C 00010321
	v_cndmask_b32_e64 v72, v72, v178, s[90:91]                 // 000000005AF8: D1000048 016B6548
	v_cndmask_b32_e64 v73, v73, v178, s[92:93]                 // 000000005B00: D1000049 01736549
	v_cmp_gt_i32_e64 s[90:91], v33, 2                          // 000000005B08: D0C4005A 00010521
	v_cmp_gt_i32_e64 s[92:93], v33, 3                          // 000000005B10: D0C4005C 00010721
	v_cndmask_b32_e64 v74, v74, v178, s[90:91]                 // 000000005B18: D100004A 016B654A
	v_cndmask_b32_e64 v75, v75, v178, s[92:93]                 // 000000005B20: D100004B 0173654B

0000000000005b28 <label_074A>:
	s_cmp_lt_i32 s101, 0xc0                                    // 000000005B28: BF04FF65 000000C0
	s_cbranch_scc0 label_07C3                                  // 000000005B30: BF84006D
	s_cmp_le_i32 s101, 64                                      // 000000005B34: BF05C065
	s_cbranch_scc1 label_0756                                  // 000000005B38: BF850007
	s_cmp_le_i32 s101, 0x80                                    // 000000005B3C: BF05FF65 00000080
	s_cbranch_scc1 label_077A                                  // 000000005B44: BF85001F
	s_cmp_lt_i32 s101, 0xc0                                    // 000000005B48: BF04FF65 000000C0
	s_cbranch_scc1 label_079E                                  // 000000005B50: BF850040
	s_branch label_07C3                                        // 000000005B54: BF820064

0000000000005b58 <label_0756>:
	s_mov_b32 s60, 0                                           // 000000005B58: BEBC0080
	v_and_b32_e32 v32, 15, v0                                  // 000000005B5C: 2640008F
	v_add_u32_e64 v32, v32, s60                                // 000000005B60: D1340020 00007920
	v_mul_i32_i24_e64 v33, s46, 16                             // 000000005B68: D1060021 0001202E
	v_add_u32_e32 v32, v32, v33                                // 000000005B70: 68404320
	v_cmp_lt_u32_e64 s[60:61], v32, s101                       // 000000005B74: D0C9003C 0000CB20
	s_nop 1                                                    // 000000005B7C: BF800001
	v_cndmask_b32_e64 v52, v178, v52, s[60:61]                 // 000000005B80: D1000034 00F269B2
	v_cndmask_b32_e64 v64, v178, v64, s[60:61]                 // 000000005B88: D1000040 00F281B2
	v_cndmask_b32_e64 v53, v178, v53, s[60:61]                 // 000000005B90: D1000035 00F26BB2
	v_cndmask_b32_e64 v65, v178, v65, s[60:61]                 // 000000005B98: D1000041 00F283B2
	v_cndmask_b32_e64 v54, v178, v54, s[60:61]                 // 000000005BA0: D1000036 00F26DB2
	v_cndmask_b32_e64 v66, v178, v66, s[60:61]                 // 000000005BA8: D1000042 00F285B2
	v_cndmask_b32_e64 v55, v178, v55, s[60:61]                 // 000000005BB0: D1000037 00F26FB2
	v_cndmask_b32_e64 v67, v178, v67, s[60:61]                 // 000000005BB8: D1000043 00F287B2
	s_branch label_0795                                        // 000000005BC0: BF82001B

0000000000005bc4 <label_077A>:
	s_mov_b32 s60, 64                                          // 000000005BC4: BEBC00C0
	v_and_b32_e32 v32, 15, v0                                  // 000000005BC8: 2640008F
	v_add_u32_e64 v32, v32, s60                                // 000000005BCC: D1340020 00007920
	v_mul_i32_i24_e64 v33, s46, 16                             // 000000005BD4: D1060021 0001202E
	v_add_u32_e32 v32, v32, v33                                // 000000005BDC: 68404320
	v_cmp_lt_u32_e64 s[60:61], v32, s101                       // 000000005BE0: D0C9003C 0000CB20
	s_nop 1                                                    // 000000005BE8: BF800001
	v_cndmask_b32_e64 v56, v178, v56, s[60:61]                 // 000000005BEC: D1000038 00F271B2
	v_cndmask_b32_e64 v68, v178, v68, s[60:61]                 // 000000005BF4: D1000044 00F289B2
	v_cndmask_b32_e64 v57, v178, v57, s[60:61]                 // 000000005BFC: D1000039 00F273B2
	v_cndmask_b32_e64 v69, v178, v69, s[60:61]                 // 000000005C04: D1000045 00F28BB2
	v_cndmask_b32_e64 v58, v178, v58, s[60:61]                 // 000000005C0C: D100003A 00F275B2
	v_cndmask_b32_e64 v70, v178, v70, s[60:61]                 // 000000005C14: D1000046 00F28DB2
	v_cndmask_b32_e64 v59, v178, v59, s[60:61]                 // 000000005C1C: D100003B 00F277B2
	v_cndmask_b32_e64 v71, v178, v71, s[60:61]                 // 000000005C24: D1000047 00F28FB2
	s_branch label_07BA                                        // 000000005C2C: BF820025

0000000000005c30 <label_0795>:
	v_mov_b32_e32 v56, v178                                    // 000000005C30: 7E7003B2
	v_mov_b32_e32 v68, v178                                    // 000000005C34: 7E8803B2
	v_mov_b32_e32 v57, v178                                    // 000000005C38: 7E7203B2
	v_mov_b32_e32 v69, v178                                    // 000000005C3C: 7E8A03B2
	v_mov_b32_e32 v58, v178                                    // 000000005C40: 7E7403B2
	v_mov_b32_e32 v70, v178                                    // 000000005C44: 7E8C03B2
	v_mov_b32_e32 v59, v178                                    // 000000005C48: 7E7603B2
	v_mov_b32_e32 v71, v178                                    // 000000005C4C: 7E8E03B2
	s_branch label_07BA                                        // 000000005C50: BF82001C

0000000000005c54 <label_079E>:
	s_mov_b32 s60, 0x80                                        // 000000005C54: BEBC00FF 00000080
	v_and_b32_e32 v32, 15, v0                                  // 000000005C5C: 2640008F
	v_add_u32_e64 v32, v32, s60                                // 000000005C60: D1340020 00007920
	v_mul_i32_i24_e64 v33, s46, 16                             // 000000005C68: D1060021 0001202E
	v_add_u32_e32 v32, v32, v33                                // 000000005C70: 68404320
	v_cmp_lt_u32_e64 s[60:61], v32, s101                       // 000000005C74: D0C9003C 0000CB20
	s_nop 1                                                    // 000000005C7C: BF800001
	v_cndmask_b32_e64 v60, v178, v60, s[60:61]                 // 000000005C80: D100003C 00F279B2
	v_cndmask_b32_e64 v72, v178, v72, s[60:61]                 // 000000005C88: D1000048 00F291B2
	v_cndmask_b32_e64 v61, v178, v61, s[60:61]                 // 000000005C90: D100003D 00F27BB2
	v_cndmask_b32_e64 v73, v178, v73, s[60:61]                 // 000000005C98: D1000049 00F293B2
	v_cndmask_b32_e64 v62, v178, v62, s[60:61]                 // 000000005CA0: D100003E 00F27DB2
	v_cndmask_b32_e64 v74, v178, v74, s[60:61]                 // 000000005CA8: D100004A 00F295B2
	v_cndmask_b32_e64 v63, v178, v63, s[60:61]                 // 000000005CB0: D100003F 00F27FB2
	v_cndmask_b32_e64 v75, v178, v75, s[60:61]                 // 000000005CB8: D100004B 00F297B2
	s_branch label_07C3                                        // 000000005CC0: BF820009

0000000000005cc4 <label_07BA>:
	v_mov_b32_e32 v60, v178                                    // 000000005CC4: 7E7803B2
	v_mov_b32_e32 v72, v178                                    // 000000005CC8: 7E9003B2
	v_mov_b32_e32 v61, v178                                    // 000000005CCC: 7E7A03B2
	v_mov_b32_e32 v73, v178                                    // 000000005CD0: 7E9203B2
	v_mov_b32_e32 v62, v178                                    // 000000005CD4: 7E7C03B2
	v_mov_b32_e32 v74, v178                                    // 000000005CD8: 7E9403B2
	v_mov_b32_e32 v63, v178                                    // 000000005CDC: 7E7E03B2
	v_mov_b32_e32 v75, v178                                    // 000000005CE0: 7E9603B2
	s_branch label_07C3                                        // 000000005CE4: BF820000

0000000000005ce8 <label_07C3>:
	s_addk_i32 s74, 0x1                                        // 000000005CE8: B74A0001
	s_waitcnt lgkmcnt(8)                                       // 000000005CEC: BF8CC87F
	s_barrier                                                  // 000000005CF0: BF8A0000
	v_mfma_f32_16x16x16_bf16 v[76:79], v[108:109], a[72:73], 0 // 000000005CF4: D3E1004C 1202916C
	ds_read_b128 a[96:99], v14 offset:4352                     // 000000005CFC: DBFE1100 6000000E
	ds_read_b128 a[100:103], v14 offset:4864                   // 000000005D04: DBFE1300 6400000E
	v_mfma_f32_16x16x16_bf16 v[76:79], v[110:111], a[74:75], v[76:79]// 000000005D0C: D3E1004C 1532956E
	v_fma_f32 v52, v52, s57, -v140                             // 000000005D14: D1CB0034 86307334
	v_fma_f32 v53, v53, s57, -v141                             // 000000005D1C: D1CB0035 86347335
	v_fma_f32 v54, v54, s57, -v142                             // 000000005D24: D1CB0036 86387336
	v_fma_f32 v55, v55, s57, -v143                             // 000000005D2C: D1CB0037 863C7337
	v_fma_f32 v56, v56, s57, -v140                             // 000000005D34: D1CB0038 86307338
	v_fma_f32 v57, v57, s57, -v141                             // 000000005D3C: D1CB0039 86347339
	v_mfma_f32_16x16x16_bf16 v[76:79], v[112:113], a[76:77], v[76:79]// 000000005D44: D3E1004C 15329970
	v_fma_f32 v58, v58, s57, -v142                             // 000000005D4C: D1CB003A 8638733A
	v_fma_f32 v59, v59, s57, -v143                             // 000000005D54: D1CB003B 863C733B
	v_fma_f32 v60, v60, s57, -v140                             // 000000005D5C: D1CB003C 8630733C
	v_fma_f32 v61, v61, s57, -v141                             // 000000005D64: D1CB003D 8634733D
	v_fma_f32 v62, v62, s57, -v142                             // 000000005D6C: D1CB003E 8638733E
	v_fma_f32 v63, v63, s57, -v143                             // 000000005D74: D1CB003F 863C733F
	v_mfma_f32_16x16x16_bf16 v[76:79], v[114:115], a[78:79], v[76:79]// 000000005D7C: D3E1004C 15329D72
	v_fma_f32 v64, v64, s57, -v144                             // 000000005D84: D1CB0040 86407340
	v_fma_f32 v65, v65, s57, -v145                             // 000000005D8C: D1CB0041 86447341
	v_fma_f32 v66, v66, s57, -v146                             // 000000005D94: D1CB0042 86487342
	v_fma_f32 v67, v67, s57, -v147                             // 000000005D9C: D1CB0043 864C7343
	v_fma_f32 v68, v68, s57, -v144                             // 000000005DA4: D1CB0044 86407344
	v_fma_f32 v69, v69, s57, -v145                             // 000000005DAC: D1CB0045 86447345
	v_mfma_f32_16x16x16_bf16 v[80:83], v[108:109], a[80:81], 0 // 000000005DB4: D3E10050 1202A16C
	ds_read_b128 a[104:107], v14 offset:6528                   // 000000005DBC: DBFE1980 6800000E
	ds_read_b128 a[108:111], v14 offset:7040                   // 000000005DC4: DBFE1B80 6C00000E
	v_mfma_f32_16x16x16_bf16 v[80:83], v[110:111], a[82:83], v[80:83]// 000000005DCC: D3E10050 1542A56E
	v_fma_f32 v70, v70, s57, -v146                             // 000000005DD4: D1CB0046 86487346
	v_fma_f32 v71, v71, s57, -v147                             // 000000005DDC: D1CB0047 864C7347
	v_fma_f32 v72, v72, s57, -v144                             // 000000005DE4: D1CB0048 86407348
	v_fma_f32 v73, v73, s57, -v145                             // 000000005DEC: D1CB0049 86447349
	v_fma_f32 v74, v74, s57, -v146                             // 000000005DF4: D1CB004A 8648734A
	v_fma_f32 v75, v75, s57, -v147                             // 000000005DFC: D1CB004B 864C734B
	v_mfma_f32_16x16x16_bf16 v[80:83], v[112:113], a[84:85], v[80:83]// 000000005E04: D3E10050 1542A970
	v_exp_f32_e32 v52, v52                                     // 000000005E0C: 7E684134
	v_exp_f32_e32 v53, v53                                     // 000000005E10: 7E6A4135
	v_mfma_f32_16x16x16_bf16 v[80:83], v[114:115], a[86:87], v[80:83]// 000000005E14: D3E10050 1542AD72
	v_exp_f32_e32 v54, v54                                     // 000000005E1C: 7E6C4136
	v_exp_f32_e32 v55, v55                                     // 000000005E20: 7E6E4137
	v_mfma_f32_16x16x16_bf16 v[84:87], v[108:109], a[88:89], 0 // 000000005E24: D3E10054 1202B16C
	ds_read_b64 v[156:157], v21 offset:31232                   // 000000005E2C: D8EC7A00 9C000015
	ds_read_b64 v[158:159], v21 offset:33280                   // 000000005E34: D8EC8200 9E000015
	v_mfma_f32_16x16x16_bf16 v[84:87], v[110:111], a[90:91], v[84:87]// 000000005E3C: D3E10054 1552B56E
	v_exp_f32_e32 v56, v56                                     // 000000005E44: 7E704138
	v_exp_f32_e32 v57, v57                                     // 000000005E48: 7E724139
	v_mfma_f32_16x16x16_bf16 v[84:87], v[112:113], a[92:93], v[84:87]// 000000005E4C: D3E10054 1552B970
	ds_read_b64 v[160:161], v21 offset:35328                   // 000000005E54: D8EC8A00 A0000015
	ds_read_b64 v[162:163], v21 offset:37376                   // 000000005E5C: D8EC9200 A2000015
	v_mfma_f32_16x16x16_bf16 v[84:87], v[114:115], a[94:95], v[84:87]// 000000005E64: D3E10054 1552BD72
	v_exp_f32_e32 v58, v58                                     // 000000005E6C: 7E74413A
	v_exp_f32_e32 v59, v59                                     // 000000005E70: 7E76413B
	v_mfma_f32_16x16x16_bf16 v[88:91], v[116:117], a[72:73], 0 // 000000005E74: D3E10058 12029174
	v_exp_f32_e32 v60, v60                                     // 000000005E7C: 7E78413C
	v_exp_f32_e32 v61, v61                                     // 000000005E80: 7E7A413D
	v_mfma_f32_16x16x16_bf16 v[88:91], v[118:119], a[74:75], v[88:91]// 000000005E84: D3E10058 15629576
	v_exp_f32_e32 v62, v62                                     // 000000005E8C: 7E7C413E
	v_exp_f32_e32 v63, v63                                     // 000000005E90: 7E7E413F
	v_mfma_f32_16x16x16_bf16 v[88:91], v[120:121], a[76:77], v[88:91]// 000000005E94: D3E10058 15629978
	v_exp_f32_e32 v64, v64                                     // 000000005E9C: 7E804140
	v_exp_f32_e32 v65, v65                                     // 000000005EA0: 7E824141
	v_mfma_f32_16x16x16_bf16 v[88:91], v[122:123], a[78:79], v[88:91]// 000000005EA4: D3E10058 15629D7A
	v_exp_f32_e32 v66, v66                                     // 000000005EAC: 7E844142
	v_exp_f32_e32 v67, v67                                     // 000000005EB0: 7E864143
	v_mfma_f32_16x16x16_bf16 v[92:95], v[116:117], a[80:81], 0 // 000000005EB4: D3E1005C 1202A174
	v_exp_f32_e32 v68, v68                                     // 000000005EBC: 7E884144
	v_exp_f32_e32 v69, v69                                     // 000000005EC0: 7E8A4145
	v_mfma_f32_16x16x16_bf16 v[92:95], v[118:119], a[82:83], v[92:95]// 000000005EC4: D3E1005C 1572A576
	v_exp_f32_e32 v70, v70                                     // 000000005ECC: 7E8C4146
	v_exp_f32_e32 v71, v71                                     // 000000005ED0: 7E8E4147
	v_mfma_f32_16x16x16_bf16 v[92:95], v[120:121], a[84:85], v[92:95]// 000000005ED4: D3E1005C 1572A978
	v_exp_f32_e32 v72, v72                                     // 000000005EDC: 7E904148
	v_exp_f32_e32 v73, v73                                     // 000000005EE0: 7E924149
	v_mfma_f32_16x16x16_bf16 v[92:95], v[122:123], a[86:87], v[92:95]// 000000005EE4: D3E1005C 1572AD7A
	v_exp_f32_e32 v74, v74                                     // 000000005EEC: 7E94414A
	v_exp_f32_e32 v75, v75                                     // 000000005EF0: 7E96414B
	v_mfma_f32_16x16x16_bf16 v[96:99], v[116:117], a[88:89], 0 // 000000005EF4: D3E10060 1202B174
	v_cmp_u_f32_e64 s[78:79], v52, v52                         // 000000005EFC: D048004E 00026934
	v_add3_u32 v228, v52, v231, 1                              // 000000005F04: D1FF00E4 0207CF34
	v_cndmask_b32_e64 v32, v228, v230, s[78:79]                // 000000005F0C: D1000020 013BCDE4
	v_cmp_u_f32_e64 s[78:79], v53, v53                         // 000000005F14: D048004E 00026B35
	v_add3_u32 v228, v53, v231, 1                              // 000000005F1C: D1FF00E4 0207CF35
	v_cndmask_b32_e64 v33, v228, v230, s[78:79]                // 000000005F24: D1000021 013BCDE4
	v_perm_b32 v164, v33, v32, s64                             // 000000005F2C: D1ED00A4 01024121
	v_cmp_u_f32_e64 s[78:79], v54, v54                         // 000000005F34: D048004E 00026D36
	v_add3_u32 v228, v54, v231, 1                              // 000000005F3C: D1FF00E4 0207CF36
	v_cndmask_b32_e64 v32, v228, v230, s[78:79]                // 000000005F44: D1000020 013BCDE4
	v_cmp_u_f32_e64 s[78:79], v55, v55                         // 000000005F4C: D048004E 00026F37
	v_add3_u32 v228, v55, v231, 1                              // 000000005F54: D1FF00E4 0207CF37
	v_cndmask_b32_e64 v33, v228, v230, s[78:79]                // 000000005F5C: D1000021 013BCDE4
	v_perm_b32 v165, v33, v32, s64                             // 000000005F64: D1ED00A5 01024121
	v_cmp_u_f32_e64 s[78:79], v56, v56                         // 000000005F6C: D048004E 00027138
	v_add3_u32 v228, v56, v231, 1                              // 000000005F74: D1FF00E4 0207CF38
	v_cndmask_b32_e64 v32, v228, v230, s[78:79]                // 000000005F7C: D1000020 013BCDE4
	v_cmp_u_f32_e64 s[78:79], v57, v57                         // 000000005F84: D048004E 00027339
	v_add3_u32 v228, v57, v231, 1                              // 000000005F8C: D1FF00E4 0207CF39
	v_cndmask_b32_e64 v33, v228, v230, s[78:79]                // 000000005F94: D1000021 013BCDE4
	v_perm_b32 v166, v33, v32, s64                             // 000000005F9C: D1ED00A6 01024121
	v_cmp_u_f32_e64 s[78:79], v58, v58                         // 000000005FA4: D048004E 0002753A
	v_add3_u32 v228, v58, v231, 1                              // 000000005FAC: D1FF00E4 0207CF3A
	v_cndmask_b32_e64 v32, v228, v230, s[78:79]                // 000000005FB4: D1000020 013BCDE4
	v_cmp_u_f32_e64 s[78:79], v59, v59                         // 000000005FBC: D048004E 0002773B
	v_add3_u32 v228, v59, v231, 1                              // 000000005FC4: D1FF00E4 0207CF3B
	v_cndmask_b32_e64 v33, v228, v230, s[78:79]                // 000000005FCC: D1000021 013BCDE4
	v_perm_b32 v167, v33, v32, s64                             // 000000005FD4: D1ED00A7 01024121
	v_cmp_u_f32_e64 s[78:79], v60, v60                         // 000000005FDC: D048004E 0002793C
	v_add3_u32 v228, v60, v231, 1                              // 000000005FE4: D1FF00E4 0207CF3C
	v_cndmask_b32_e64 v32, v228, v230, s[78:79]                // 000000005FEC: D1000020 013BCDE4
	v_cmp_u_f32_e64 s[78:79], v61, v61                         // 000000005FF4: D048004E 00027B3D
	v_add3_u32 v228, v61, v231, 1                              // 000000005FFC: D1FF00E4 0207CF3D
	v_cndmask_b32_e64 v33, v228, v230, s[78:79]                // 000000006004: D1000021 013BCDE4
	v_perm_b32 v168, v33, v32, s64                             // 00000000600C: D1ED00A8 01024121
	v_cmp_u_f32_e64 s[78:79], v62, v62                         // 000000006014: D048004E 00027D3E
	v_add3_u32 v228, v62, v231, 1                              // 00000000601C: D1FF00E4 0207CF3E
	v_cndmask_b32_e64 v32, v228, v230, s[78:79]                // 000000006024: D1000020 013BCDE4
	v_cmp_u_f32_e64 s[78:79], v63, v63                         // 00000000602C: D048004E 00027F3F
	v_add3_u32 v228, v63, v231, 1                              // 000000006034: D1FF00E4 0207CF3F
	v_cndmask_b32_e64 v33, v228, v230, s[78:79]                // 00000000603C: D1000021 013BCDE4
	v_perm_b32 v169, v33, v32, s64                             // 000000006044: D1ED00A9 01024121
	v_mfma_f32_16x16x16_bf16 v[96:99], v[118:119], a[90:91], v[96:99]// 00000000604C: D3E10060 1582B576
	v_cmp_u_f32_e64 s[78:79], v64, v64                         // 000000006054: D048004E 00028140
	v_add3_u32 v228, v64, v231, 1                              // 00000000605C: D1FF00E4 0207CF40
	v_cndmask_b32_e64 v32, v228, v230, s[78:79]                // 000000006064: D1000020 013BCDE4
	v_cmp_u_f32_e64 s[78:79], v65, v65                         // 00000000606C: D048004E 00028341
	v_add3_u32 v228, v65, v231, 1                              // 000000006074: D1FF00E4 0207CF41
	v_cndmask_b32_e64 v33, v228, v230, s[78:79]                // 00000000607C: D1000021 013BCDE4
	v_perm_b32 v170, v33, v32, s64                             // 000000006084: D1ED00AA 01024121
	v_cmp_u_f32_e64 s[78:79], v66, v66                         // 00000000608C: D048004E 00028542
	v_add3_u32 v228, v66, v231, 1                              // 000000006094: D1FF00E4 0207CF42
	v_cndmask_b32_e64 v32, v228, v230, s[78:79]                // 00000000609C: D1000020 013BCDE4
	v_cmp_u_f32_e64 s[78:79], v67, v67                         // 0000000060A4: D048004E 00028743
	v_add3_u32 v228, v67, v231, 1                              // 0000000060AC: D1FF00E4 0207CF43
	v_cndmask_b32_e64 v33, v228, v230, s[78:79]                // 0000000060B4: D1000021 013BCDE4
	v_perm_b32 v171, v33, v32, s64                             // 0000000060BC: D1ED00AB 01024121
	v_cmp_u_f32_e64 s[78:79], v68, v68                         // 0000000060C4: D048004E 00028944
	v_add3_u32 v228, v68, v231, 1                              // 0000000060CC: D1FF00E4 0207CF44
	v_cndmask_b32_e64 v32, v228, v230, s[78:79]                // 0000000060D4: D1000020 013BCDE4
	v_cmp_u_f32_e64 s[78:79], v69, v69                         // 0000000060DC: D048004E 00028B45
	v_add3_u32 v228, v69, v231, 1                              // 0000000060E4: D1FF00E4 0207CF45
	v_cndmask_b32_e64 v33, v228, v230, s[78:79]                // 0000000060EC: D1000021 013BCDE4
	v_perm_b32 v172, v33, v32, s64                             // 0000000060F4: D1ED00AC 01024121
	v_cmp_u_f32_e64 s[78:79], v70, v70                         // 0000000060FC: D048004E 00028D46
	v_add3_u32 v228, v70, v231, 1                              // 000000006104: D1FF00E4 0207CF46
	v_cndmask_b32_e64 v32, v228, v230, s[78:79]                // 00000000610C: D1000020 013BCDE4
	v_cmp_u_f32_e64 s[78:79], v71, v71                         // 000000006114: D048004E 00028F47
	v_add3_u32 v228, v71, v231, 1                              // 00000000611C: D1FF00E4 0207CF47
	v_cndmask_b32_e64 v33, v228, v230, s[78:79]                // 000000006124: D1000021 013BCDE4
	v_perm_b32 v173, v33, v32, s64                             // 00000000612C: D1ED00AD 01024121
	v_cmp_u_f32_e64 s[78:79], v72, v72                         // 000000006134: D048004E 00029148
	v_add3_u32 v228, v72, v231, 1                              // 00000000613C: D1FF00E4 0207CF48
	v_cndmask_b32_e64 v32, v228, v230, s[78:79]                // 000000006144: D1000020 013BCDE4
	v_cmp_u_f32_e64 s[78:79], v73, v73                         // 00000000614C: D048004E 00029349
	v_add3_u32 v228, v73, v231, 1                              // 000000006154: D1FF00E4 0207CF49
	v_cndmask_b32_e64 v33, v228, v230, s[78:79]                // 00000000615C: D1000021 013BCDE4
	v_perm_b32 v174, v33, v32, s64                             // 000000006164: D1ED00AE 01024121
	v_cmp_u_f32_e64 s[78:79], v74, v74                         // 00000000616C: D048004E 0002954A
	v_add3_u32 v228, v74, v231, 1                              // 000000006174: D1FF00E4 0207CF4A
	v_cndmask_b32_e64 v32, v228, v230, s[78:79]                // 00000000617C: D1000020 013BCDE4
	v_cmp_u_f32_e64 s[78:79], v75, v75                         // 000000006184: D048004E 0002974B
	v_add3_u32 v228, v75, v231, 1                              // 00000000618C: D1FF00E4 0207CF4B
	v_cndmask_b32_e64 v33, v228, v230, s[78:79]                // 000000006194: D1000021 013BCDE4
	v_perm_b32 v175, v33, v32, s64                             // 00000000619C: D1ED00AF 01024121
	v_mfma_f32_16x16x16_bf16 v[96:99], v[120:121], a[92:93], v[96:99]// 0000000061A4: D3E10060 1582B978
	v_add_u32_e32 v6, s66, v6                                  // 0000000061AC: 680C0C42
	v_add_u32_e32 v7, s66, v7                                  // 0000000061B0: 680E0E42
	v_add_u32_e32 v8, s66, v8                                  // 0000000061B4: 68101042
	v_add_u32_e32 v9, s66, v9                                  // 0000000061B8: 68121242
	v_mfma_f32_16x16x16_bf16 v[96:99], v[122:123], a[94:95], v[96:99]// 0000000061BC: D3E10060 1582BD7A
	s_waitcnt lgkmcnt(0)                                       // 0000000061C4: BF8CC07F
	s_barrier                                                  // 0000000061C8: BF8A0000
	v_mfma_f32_16x16x16_bf16 v[180:183], v[124:125], v[164:165], v[180:183]// 0000000061CC: D3E100B4 06D3497C
	v_subrev_f32_dpp v76, v176, v76 quad_perm:[0,0,0,0] row_mask:0xf bank_mask:0xf// 0000000061D4: 069898FA FF0000B0
	v_subrev_f32_dpp v77, v176, v77 quad_perm:[1,1,1,1] row_mask:0xf bank_mask:0xf// 0000000061DC: 069A9AFA FF0055B0
	v_subrev_f32_dpp v78, v176, v78 quad_perm:[2,2,2,2] row_mask:0xf bank_mask:0xf// 0000000061E4: 069C9CFA FF00AAB0
	v_subrev_f32_dpp v79, v176, v79 quad_perm:[3,3,3,3] row_mask:0xf bank_mask:0xf// 0000000061EC: 069E9EFA FF00FFB0
	v_subrev_f32_dpp v80, v176, v80 quad_perm:[0,0,0,0] row_mask:0xf bank_mask:0xf// 0000000061F4: 06A0A0FA FF0000B0
	v_subrev_f32_dpp v81, v176, v81 quad_perm:[1,1,1,1] row_mask:0xf bank_mask:0xf// 0000000061FC: 06A2A2FA FF0055B0
	v_mfma_f32_16x16x16_bf16 v[184:187], v[126:127], v[164:165], v[184:187]// 000000006204: D3E100B8 06E3497E
	v_subrev_f32_dpp v82, v176, v82 quad_perm:[2,2,2,2] row_mask:0xf bank_mask:0xf// 00000000620C: 06A4A4FA FF00AAB0
	v_subrev_f32_dpp v83, v176, v83 quad_perm:[3,3,3,3] row_mask:0xf bank_mask:0xf// 000000006214: 06A6A6FA FF00FFB0
	v_subrev_f32_dpp v84, v176, v84 quad_perm:[0,0,0,0] row_mask:0xf bank_mask:0xf// 00000000621C: 06A8A8FA FF0000B0
	v_subrev_f32_dpp v85, v176, v85 quad_perm:[1,1,1,1] row_mask:0xf bank_mask:0xf// 000000006224: 06AAAAFA FF0055B0
	v_subrev_f32_dpp v86, v176, v86 quad_perm:[2,2,2,2] row_mask:0xf bank_mask:0xf// 00000000622C: 06ACACFA FF00AAB0
	v_subrev_f32_dpp v87, v176, v87 quad_perm:[3,3,3,3] row_mask:0xf bank_mask:0xf// 000000006234: 06AEAEFA FF00FFB0
	v_mfma_f32_16x16x16_bf16 v[188:191], v[128:129], v[164:165], v[188:191]// 00000000623C: D3E100BC 06F34980
	v_mul_f32_e32 v76, v52, v76                                // 000000006244: 0A989934
	v_mul_f32_e32 v77, v53, v77                                // 000000006248: 0A9A9B35
	v_mul_f32_e32 v78, v54, v78                                // 00000000624C: 0A9C9D36
	v_mul_f32_e32 v79, v55, v79                                // 000000006250: 0A9E9F37
	v_mul_f32_e32 v80, v56, v80                                // 000000006254: 0AA0A138
	v_mul_f32_e32 v81, v57, v81                                // 000000006258: 0AA2A339
	v_mfma_f32_16x16x16_bf16 v[192:195], v[130:131], v[164:165], v[192:195]// 00000000625C: D3E100C0 07034982
	v_mul_f32_e32 v82, v58, v82                                // 000000006264: 0AA4A53A
	v_mul_f32_e32 v83, v59, v83                                // 000000006268: 0AA6A73B
	v_mul_f32_e32 v84, v60, v84                                // 00000000626C: 0AA8A93C
	v_mul_f32_e32 v85, v61, v85                                // 000000006270: 0AAAAB3D
	v_mul_f32_e32 v86, v62, v86                                // 000000006274: 0AACAD3E
	v_mul_f32_e32 v87, v63, v87                                // 000000006278: 0AAEAF3F
	v_mfma_f32_16x16x16_bf16 v[196:199], v[124:125], v[166:167], v[196:199]// 00000000627C: D3E100C4 07134D7C
	v_cmp_u_f32_e64 s[78:79], v76, v76                         // 000000006284: D048004E 0002994C
	v_add3_u32 v228, v76, v231, 1                              // 00000000628C: D1FF00E4 0207CF4C
	v_cndmask_b32_e64 v32, v228, v230, s[78:79]                // 000000006294: D1000020 013BCDE4
	v_cmp_u_f32_e64 s[78:79], v77, v77                         // 00000000629C: D048004E 00029B4D
	v_add3_u32 v228, v77, v231, 1                              // 0000000062A4: D1FF00E4 0207CF4D
	v_cndmask_b32_e64 v33, v228, v230, s[78:79]                // 0000000062AC: D1000021 013BCDE4
	v_perm_b32 v76, v33, v32, s64                              // 0000000062B4: D1ED004C 01024121
	v_cmp_u_f32_e64 s[78:79], v78, v78                         // 0000000062BC: D048004E 00029D4E
	v_add3_u32 v228, v78, v231, 1                              // 0000000062C4: D1FF00E4 0207CF4E
	v_cndmask_b32_e64 v32, v228, v230, s[78:79]                // 0000000062CC: D1000020 013BCDE4
	v_cmp_u_f32_e64 s[78:79], v79, v79                         // 0000000062D4: D048004E 00029F4F
	v_add3_u32 v228, v79, v231, 1                              // 0000000062DC: D1FF00E4 0207CF4F
	v_cndmask_b32_e64 v33, v228, v230, s[78:79]                // 0000000062E4: D1000021 013BCDE4
	v_perm_b32 v77, v33, v32, s64                              // 0000000062EC: D1ED004D 01024121
	v_cmp_u_f32_e64 s[78:79], v80, v80                         // 0000000062F4: D048004E 0002A150
	v_add3_u32 v228, v80, v231, 1                              // 0000000062FC: D1FF00E4 0207CF50
	v_cndmask_b32_e64 v32, v228, v230, s[78:79]                // 000000006304: D1000020 013BCDE4
	v_cmp_u_f32_e64 s[78:79], v81, v81                         // 00000000630C: D048004E 0002A351
	v_add3_u32 v228, v81, v231, 1                              // 000000006314: D1FF00E4 0207CF51
	v_cndmask_b32_e64 v33, v228, v230, s[78:79]                // 00000000631C: D1000021 013BCDE4
	v_perm_b32 v78, v33, v32, s64                              // 000000006324: D1ED004E 01024121
	v_cmp_u_f32_e64 s[78:79], v82, v82                         // 00000000632C: D048004E 0002A552
	v_add3_u32 v228, v82, v231, 1                              // 000000006334: D1FF00E4 0207CF52
	v_cndmask_b32_e64 v32, v228, v230, s[78:79]                // 00000000633C: D1000020 013BCDE4
	v_cmp_u_f32_e64 s[78:79], v83, v83                         // 000000006344: D048004E 0002A753
	v_add3_u32 v228, v83, v231, 1                              // 00000000634C: D1FF00E4 0207CF53
	v_cndmask_b32_e64 v33, v228, v230, s[78:79]                // 000000006354: D1000021 013BCDE4
	v_perm_b32 v79, v33, v32, s64                              // 00000000635C: D1ED004F 01024121
	v_cmp_u_f32_e64 s[78:79], v84, v84                         // 000000006364: D048004E 0002A954
	v_add3_u32 v228, v84, v231, 1                              // 00000000636C: D1FF00E4 0207CF54
	v_cndmask_b32_e64 v32, v228, v230, s[78:79]                // 000000006374: D1000020 013BCDE4
	v_cmp_u_f32_e64 s[78:79], v85, v85                         // 00000000637C: D048004E 0002AB55
	v_add3_u32 v228, v85, v231, 1                              // 000000006384: D1FF00E4 0207CF55
	v_cndmask_b32_e64 v33, v228, v230, s[78:79]                // 00000000638C: D1000021 013BCDE4
	v_perm_b32 v80, v33, v32, s64                              // 000000006394: D1ED0050 01024121
	v_cmp_u_f32_e64 s[78:79], v86, v86                         // 00000000639C: D048004E 0002AD56
	v_add3_u32 v228, v86, v231, 1                              // 0000000063A4: D1FF00E4 0207CF56
	v_cndmask_b32_e64 v32, v228, v230, s[78:79]                // 0000000063AC: D1000020 013BCDE4
	v_cmp_u_f32_e64 s[78:79], v87, v87                         // 0000000063B4: D048004E 0002AF57
	v_add3_u32 v228, v87, v231, 1                              // 0000000063BC: D1FF00E4 0207CF57
	v_cndmask_b32_e64 v33, v228, v230, s[78:79]                // 0000000063C4: D1000021 013BCDE4
	v_perm_b32 v81, v33, v32, s64                              // 0000000063CC: D1ED0051 01024121
	v_mfma_f32_16x16x16_bf16 v[200:203], v[126:127], v[166:167], v[200:203]// 0000000063D4: D3E100C8 07234D7E
	v_mov_b32_dpp v18, v76 quad_perm:[1,0,3,2] row_mask:0xf bank_mask:0xf// 0000000063DC: 7E2402FA FF00B14C
	v_perm_b32 v52, v18, v76, v17                              // 0000000063E4: D1ED0034 04469912
	v_mov_b32_dpp v18, v77 quad_perm:[1,0,3,2] row_mask:0xf bank_mask:0xf// 0000000063EC: 7E2402FA FF00B14D
	v_perm_b32 v53, v18, v77, v17                              // 0000000063F4: D1ED0035 04469B12
	v_mov_b32_dpp v18, v78 quad_perm:[1,0,3,2] row_mask:0xf bank_mask:0xf// 0000000063FC: 7E2402FA FF00B14E
	v_perm_b32 v54, v18, v78, v17                              // 000000006404: D1ED0036 04469D12
	v_mfma_f32_16x16x16_bf16 v[204:207], v[128:129], v[166:167], v[204:207]// 00000000640C: D3E100CC 07334D80
	v_mov_b32_dpp v18, v79 quad_perm:[1,0,3,2] row_mask:0xf bank_mask:0xf// 000000006414: 7E2402FA FF00B14F
	v_perm_b32 v55, v18, v79, v17                              // 00000000641C: D1ED0037 04469F12
	v_mov_b32_dpp v18, v80 quad_perm:[1,0,3,2] row_mask:0xf bank_mask:0xf// 000000006424: 7E2402FA FF00B150
	v_perm_b32 v56, v18, v80, v17                              // 00000000642C: D1ED0038 0446A112
	v_mov_b32_dpp v18, v81 quad_perm:[1,0,3,2] row_mask:0xf bank_mask:0xf// 000000006434: 7E2402FA FF00B151
	v_perm_b32 v57, v18, v81, v17                              // 00000000643C: D1ED0039 0446A312
	v_mfma_f32_16x16x16_bf16 v[208:211], v[130:131], v[166:167], v[208:211]// 000000006444: D3E100D0 07434D82
	ds_write_b32 v20, v52 offset:17408                         // 00000000644C: D81A4400 00003414
	ds_write_b32 v20, v53 offset:17952                         // 000000006454: D81A4620 00003514
	v_mfma_f32_16x16x16_bf16 v[212:215], v[124:125], v[168:169], v[212:215]// 00000000645C: D3E100D4 0753517C
	v_subrev_f32_dpp v88, v177, v88 quad_perm:[0,0,0,0] row_mask:0xf bank_mask:0xf// 000000006464: 06B0B0FA FF0000B1
	v_subrev_f32_dpp v89, v177, v89 quad_perm:[1,1,1,1] row_mask:0xf bank_mask:0xf// 00000000646C: 06B2B2FA FF0055B1
	v_subrev_f32_dpp v90, v177, v90 quad_perm:[2,2,2,2] row_mask:0xf bank_mask:0xf// 000000006474: 06B4B4FA FF00AAB1
	v_subrev_f32_dpp v91, v177, v91 quad_perm:[3,3,3,3] row_mask:0xf bank_mask:0xf// 00000000647C: 06B6B6FA FF00FFB1
	v_subrev_f32_dpp v92, v177, v92 quad_perm:[0,0,0,0] row_mask:0xf bank_mask:0xf// 000000006484: 06B8B8FA FF0000B1
	v_subrev_f32_dpp v93, v177, v93 quad_perm:[1,1,1,1] row_mask:0xf bank_mask:0xf// 00000000648C: 06BABAFA FF0055B1
	v_mfma_f32_16x16x16_bf16 v[216:219], v[126:127], v[168:169], v[216:219]// 000000006494: D3E100D8 0763517E
	ds_write_b32 v20, v54 offset:19712                         // 00000000649C: D81A4D00 00003614
	ds_write_b32 v20, v55 offset:20256                         // 0000000064A4: D81A4F20 00003714
	v_mfma_f32_16x16x16_bf16 v[220:223], v[128:129], v[168:169], v[220:223]// 0000000064AC: D3E100DC 07735180
	v_subrev_f32_dpp v94, v177, v94 quad_perm:[2,2,2,2] row_mask:0xf bank_mask:0xf// 0000000064B4: 06BCBCFA FF00AAB1
	v_subrev_f32_dpp v95, v177, v95 quad_perm:[3,3,3,3] row_mask:0xf bank_mask:0xf// 0000000064BC: 06BEBEFA FF00FFB1
	v_subrev_f32_dpp v96, v177, v96 quad_perm:[0,0,0,0] row_mask:0xf bank_mask:0xf// 0000000064C4: 06C0C0FA FF0000B1
	v_subrev_f32_dpp v97, v177, v97 quad_perm:[1,1,1,1] row_mask:0xf bank_mask:0xf// 0000000064CC: 06C2C2FA FF0055B1
	v_subrev_f32_dpp v98, v177, v98 quad_perm:[2,2,2,2] row_mask:0xf bank_mask:0xf// 0000000064D4: 06C4C4FA FF00AAB1
	v_subrev_f32_dpp v99, v177, v99 quad_perm:[3,3,3,3] row_mask:0xf bank_mask:0xf// 0000000064DC: 06C6C6FA FF00FFB1
	v_mfma_f32_16x16x16_bf16 v[224:227], v[130:131], v[168:169], v[224:227]// 0000000064E4: D3E100E0 07835182
	ds_write_b32 v20, v56 offset:22016                         // 0000000064EC: D81A5600 00003814
	ds_write_b32 v20, v57 offset:22560                         // 0000000064F4: D81A5820 00003914
	v_mfma_f32_16x16x16_bf16 v[180:183], v[132:133], v[170:171], v[180:183]// 0000000064FC: D3E100B4 06D35584
	v_mul_f32_e32 v88, v64, v88                                // 000000006504: 0AB0B140
	v_mul_f32_e32 v89, v65, v89                                // 000000006508: 0AB2B341
	v_mul_f32_e32 v90, v66, v90                                // 00000000650C: 0AB4B542
	v_mul_f32_e32 v91, v67, v91                                // 000000006510: 0AB6B743
	v_mul_f32_e32 v92, v68, v92                                // 000000006514: 0AB8B944
	v_mul_f32_e32 v93, v69, v93                                // 000000006518: 0ABABB45
	v_mfma_f32_16x16x16_bf16 v[184:187], v[134:135], v[170:171], v[184:187]// 00000000651C: D3E100B8 06E35586
	v_mul_f32_e32 v94, v70, v94                                // 000000006524: 0ABCBD46
	v_mul_f32_e32 v95, v71, v95                                // 000000006528: 0ABEBF47
	v_mul_f32_e32 v96, v72, v96                                // 00000000652C: 0AC0C148
	v_mul_f32_e32 v97, v73, v97                                // 000000006530: 0AC2C349
	v_mul_f32_e32 v98, v74, v98                                // 000000006534: 0AC4C54A
	v_mul_f32_e32 v99, v75, v99                                // 000000006538: 0AC6C74B
	v_mfma_f32_16x16x16_bf16 v[188:191], v[136:137], v[170:171], v[188:191]// 00000000653C: D3E100BC 06F35588
	v_cmp_u_f32_e64 s[78:79], v88, v88                         // 000000006544: D048004E 0002B158
	v_add3_u32 v228, v88, v231, 1                              // 00000000654C: D1FF00E4 0207CF58
	v_cndmask_b32_e64 v32, v228, v230, s[78:79]                // 000000006554: D1000020 013BCDE4
	v_cmp_u_f32_e64 s[78:79], v89, v89                         // 00000000655C: D048004E 0002B359
	v_add3_u32 v228, v89, v231, 1                              // 000000006564: D1FF00E4 0207CF59
	v_cndmask_b32_e64 v33, v228, v230, s[78:79]                // 00000000656C: D1000021 013BCDE4
	v_perm_b32 v82, v33, v32, s64                              // 000000006574: D1ED0052 01024121
	v_cmp_u_f32_e64 s[78:79], v90, v90                         // 00000000657C: D048004E 0002B55A
	v_add3_u32 v228, v90, v231, 1                              // 000000006584: D1FF00E4 0207CF5A
	v_cndmask_b32_e64 v32, v228, v230, s[78:79]                // 00000000658C: D1000020 013BCDE4
	v_cmp_u_f32_e64 s[78:79], v91, v91                         // 000000006594: D048004E 0002B75B
	v_add3_u32 v228, v91, v231, 1                              // 00000000659C: D1FF00E4 0207CF5B
	v_cndmask_b32_e64 v33, v228, v230, s[78:79]                // 0000000065A4: D1000021 013BCDE4
	v_perm_b32 v83, v33, v32, s64                              // 0000000065AC: D1ED0053 01024121
	v_cmp_u_f32_e64 s[78:79], v92, v92                         // 0000000065B4: D048004E 0002B95C
	v_add3_u32 v228, v92, v231, 1                              // 0000000065BC: D1FF00E4 0207CF5C
	v_cndmask_b32_e64 v32, v228, v230, s[78:79]                // 0000000065C4: D1000020 013BCDE4
	v_cmp_u_f32_e64 s[78:79], v93, v93                         // 0000000065CC: D048004E 0002BB5D
	v_add3_u32 v228, v93, v231, 1                              // 0000000065D4: D1FF00E4 0207CF5D
	v_cndmask_b32_e64 v33, v228, v230, s[78:79]                // 0000000065DC: D1000021 013BCDE4
	v_perm_b32 v84, v33, v32, s64                              // 0000000065E4: D1ED0054 01024121
	v_cmp_u_f32_e64 s[78:79], v94, v94                         // 0000000065EC: D048004E 0002BD5E
	v_add3_u32 v228, v94, v231, 1                              // 0000000065F4: D1FF00E4 0207CF5E
	v_cndmask_b32_e64 v32, v228, v230, s[78:79]                // 0000000065FC: D1000020 013BCDE4
	v_cmp_u_f32_e64 s[78:79], v95, v95                         // 000000006604: D048004E 0002BF5F
	v_add3_u32 v228, v95, v231, 1                              // 00000000660C: D1FF00E4 0207CF5F
	v_cndmask_b32_e64 v33, v228, v230, s[78:79]                // 000000006614: D1000021 013BCDE4
	v_perm_b32 v85, v33, v32, s64                              // 00000000661C: D1ED0055 01024121
	v_cmp_u_f32_e64 s[78:79], v96, v96                         // 000000006624: D048004E 0002C160
	v_add3_u32 v228, v96, v231, 1                              // 00000000662C: D1FF00E4 0207CF60
	v_cndmask_b32_e64 v32, v228, v230, s[78:79]                // 000000006634: D1000020 013BCDE4
	v_cmp_u_f32_e64 s[78:79], v97, v97                         // 00000000663C: D048004E 0002C361
	v_add3_u32 v228, v97, v231, 1                              // 000000006644: D1FF00E4 0207CF61
	v_cndmask_b32_e64 v33, v228, v230, s[78:79]                // 00000000664C: D1000021 013BCDE4
	v_perm_b32 v86, v33, v32, s64                              // 000000006654: D1ED0056 01024121
	v_cmp_u_f32_e64 s[78:79], v98, v98                         // 00000000665C: D048004E 0002C562
	v_add3_u32 v228, v98, v231, 1                              // 000000006664: D1FF00E4 0207CF62
	v_cndmask_b32_e64 v32, v228, v230, s[78:79]                // 00000000666C: D1000020 013BCDE4
	v_cmp_u_f32_e64 s[78:79], v99, v99                         // 000000006674: D048004E 0002C763
	v_add3_u32 v228, v99, v231, 1                              // 00000000667C: D1FF00E4 0207CF63
	v_cndmask_b32_e64 v33, v228, v230, s[78:79]                // 000000006684: D1000021 013BCDE4
	v_perm_b32 v87, v33, v32, s64                              // 00000000668C: D1ED0057 01024121
	v_mfma_f32_16x16x16_bf16 v[192:195], v[138:139], v[170:171], v[192:195]// 000000006694: D3E100C0 0703558A
	v_mov_b32_dpp v18, v82 quad_perm:[1,0,3,2] row_mask:0xf bank_mask:0xf// 00000000669C: 7E2402FA FF00B152
	v_perm_b32 v58, v18, v82, v17                              // 0000000066A4: D1ED003A 0446A512
	v_mov_b32_dpp v18, v83 quad_perm:[1,0,3,2] row_mask:0xf bank_mask:0xf// 0000000066AC: 7E2402FA FF00B153
	v_perm_b32 v59, v18, v83, v17                              // 0000000066B4: D1ED003B 0446A712
	v_mov_b32_dpp v18, v84 quad_perm:[1,0,3,2] row_mask:0xf bank_mask:0xf// 0000000066BC: 7E2402FA FF00B154
	v_perm_b32 v60, v18, v84, v17                              // 0000000066C4: D1ED003C 0446A912
	v_mfma_f32_16x16x16_bf16 v[196:199], v[132:133], v[172:173], v[196:199]// 0000000066CC: D3E100C4 07135984
	v_mov_b32_dpp v18, v85 quad_perm:[1,0,3,2] row_mask:0xf bank_mask:0xf// 0000000066D4: 7E2402FA FF00B155
	v_perm_b32 v61, v18, v85, v17                              // 0000000066DC: D1ED003D 0446AB12
	v_mov_b32_dpp v18, v86 quad_perm:[1,0,3,2] row_mask:0xf bank_mask:0xf// 0000000066E4: 7E2402FA FF00B156
	v_perm_b32 v62, v18, v86, v17                              // 0000000066EC: D1ED003E 0446AD12
	v_mov_b32_dpp v18, v87 quad_perm:[1,0,3,2] row_mask:0xf bank_mask:0xf// 0000000066F4: 7E2402FA FF00B157
	v_perm_b32 v63, v18, v87, v17                              // 0000000066FC: D1ED003F 0446AF12
	v_mfma_f32_16x16x16_bf16 v[200:203], v[134:135], v[172:173], v[200:203]// 000000006704: D3E100C8 07235986
	ds_write_b32 v20, v58 offset:24320                         // 00000000670C: D81A5F00 00003A14
	ds_write_b32 v20, v59 offset:24864                         // 000000006714: D81A6120 00003B14
	v_mfma_f32_16x16x16_bf16 v[204:207], v[136:137], v[172:173], v[204:207]// 00000000671C: D3E100CC 07335988
	v_mfma_f32_16x16x16_bf16 v[208:211], v[138:139], v[172:173], v[208:211]// 000000006724: D3E100D0 0743598A
	ds_write_b32 v20, v60 offset:26624                         // 00000000672C: D81A6800 00003C14
	ds_write_b32 v20, v61 offset:27168                         // 000000006734: D81A6A20 00003D14
	ds_write_b32 v20, v62 offset:28928                         // 00000000673C: D81A7100 00003E14
	ds_write_b32 v20, v63 offset:29472                         // 000000006744: D81A7320 00003F14
	v_mfma_f32_16x16x16_bf16 v[212:215], v[132:133], v[174:175], v[212:215]// 00000000674C: D3E100D4 07535D84
	v_mfma_f32_16x16x16_bf16 v[216:219], v[134:135], v[174:175], v[216:219]// 000000006754: D3E100D8 07635D86
	ds_write_b32 v15, v100 offset:4352                         // 00000000675C: D81A1100 0000640F
	ds_write_b32 v15, v101 offset:5408                         // 000000006764: D81A1520 0000650F
	v_mfma_f32_16x16x16_bf16 v[220:223], v[136:137], v[174:175], v[220:223]// 00000000676C: D3E100DC 07735D88
	s_nop 0                                                    // 000000006774: BF800000
	s_nop 0                                                    // 000000006778: BF800000
	s_nop 0                                                    // 00000000677C: BF800000
	v_mfma_f32_16x16x16_bf16 v[224:227], v[138:139], v[174:175], v[224:227]// 000000006780: D3E100E0 07835D8A
	ds_write_b32 v15, v102 offset:6528                         // 000000006788: D81A1980 0000660F
	ds_write_b32 v15, v103 offset:7584                         // 000000006790: D81A1DA0 0000670F
	s_barrier                                                  // 000000006798: BF8A0000
	v_mfma_f32_16x16x16_bf16 a[112:115], a[96:97], v[76:77], a[112:115]// 00000000679C: D3E18070 0DC29960
	buffer_atomic_add_f32 v156, v6, s[32:35], 0 idxen          // 0000000067A4: E1342000 80089C06
	v_mfma_f32_16x16x16_bf16 a[116:119], a[98:99], v[76:77], a[116:119]// 0000000067AC: D3E18074 0DD29962
	ds_read_b32 v140, v23 offset:39936                         // 0000000067B4: D86C9C00 8C000017
	ds_read_b32 v144, v23 offset:40000                         // 0000000067BC: D86C9C40 90000017
	ds_read_b32 v176, v23 offset:40192                         // 0000000067C4: D86C9D00 B0000017
	ds_read_b32 v177, v23 offset:40256                         // 0000000067CC: D86C9D40 B1000017
	v_mfma_f32_16x16x16_bf16 a[120:123], a[100:101], v[76:77], a[120:123]// 0000000067D4: D3E18078 0DE29964
	s_waitcnt lgkmcnt(8)                                       // 0000000067DC: BF8CC87F
	s_barrier                                                  // 0000000067E0: BF8A0000
	v_mfma_f32_16x16x16_bf16 a[124:127], a[102:103], v[76:77], a[124:127]// 0000000067E4: D3E1807C 0DF29966
	ds_read_b128 v[52:55], v19 offset:17408                    // 0000000067EC: D9FE4400 34000013
	v_mfma_f32_16x16x16_bf16 a[128:131], a[96:97], v[78:79], a[128:131]// 0000000067F4: D3E18080 0E029D60
	v_mfma_f32_16x16x16_bf16 a[132:135], a[98:99], v[78:79], a[132:135]// 0000000067FC: D3E18084 0E129D62
	ds_read_b128 v[56:59], v19 offset:18560                    // 000000006804: D9FE4880 38000013
	v_mfma_f32_16x16x16_bf16 a[136:139], a[100:101], v[78:79], a[136:139]// 00000000680C: D3E18088 0E229D64
	buffer_atomic_add_f32 v157, v7, s[32:35], 0 idxen          // 000000006814: E1342000 80089D07
	v_mfma_f32_16x16x16_bf16 a[140:143], a[102:103], v[78:79], a[140:143]// 00000000681C: D3E1808C 0E329D66
	ds_read_b128 v[60:63], v19 offset:19712                    // 000000006824: D9FE4D00 3C000013
	v_mfma_f32_16x16x16_bf16 a[144:147], a[96:97], v[80:81], a[144:147]// 00000000682C: D3E18090 0E42A160
	v_mfma_f32_16x16x16_bf16 a[148:151], a[98:99], v[80:81], a[148:151]// 000000006834: D3E18094 0E52A162
	ds_read_b128 v[64:67], v19 offset:20864                    // 00000000683C: D9FE5180 40000013
	v_mfma_f32_16x16x16_bf16 a[152:155], a[100:101], v[80:81], a[152:155]// 000000006844: D3E18098 0E62A164
	v_mfma_f32_16x16x16_bf16 a[156:159], a[102:103], v[80:81], a[156:159]// 00000000684C: D3E1809C 0E72A166
	ds_read_b128 v[68:71], v19 offset:22016                    // 000000006854: D9FE5600 44000013
	v_mfma_f32_16x16x16_bf16 a[112:115], a[104:105], v[82:83], a[112:115]// 00000000685C: D3E18070 0DC2A568
	buffer_atomic_add_f32 v158, v6, s[32:35], 0 idxen offset:128// 000000006864: E1342080 80089E06
	v_mfma_f32_16x16x16_bf16 a[116:119], a[106:107], v[82:83], a[116:119]// 00000000686C: D3E18074 0DD2A56A
	ds_read_b128 v[72:75], v19 offset:23168                    // 000000006874: D9FE5A80 48000013
	v_mfma_f32_16x16x16_bf16 a[120:123], a[108:109], v[82:83], a[120:123]// 00000000687C: D3E18078 0DE2A56C
	v_mfma_f32_16x16x16_bf16 a[124:127], a[110:111], v[82:83], a[124:127]// 000000006884: D3E1807C 0DF2A56E
	ds_write_b32 v15, v104 offset:13056                        // 00000000688C: D81A3300 0000680F
	v_mfma_f32_16x16x16_bf16 a[128:131], a[104:105], v[84:85], a[128:131]// 000000006894: D3E18080 0E02A968
	v_mfma_f32_16x16x16_bf16 a[132:135], a[106:107], v[84:85], a[132:135]// 00000000689C: D3E18084 0E12A96A
	ds_write_b32 v15, v105 offset:14112                        // 0000000068A4: D81A3720 0000690F
	v_mfma_f32_16x16x16_bf16 a[136:139], a[108:109], v[84:85], a[136:139]// 0000000068AC: D3E18088 0E22A96C
	buffer_atomic_add_f32 v159, v7, s[32:35], 0 idxen offset:128// 0000000068B4: E1342080 80089F07
	v_mfma_f32_16x16x16_bf16 a[140:143], a[110:111], v[84:85], a[140:143]// 0000000068BC: D3E1808C 0E32A96E
	ds_write_b32 v15, v106 offset:15232                        // 0000000068C4: D81A3B80 00006A0F
	v_mfma_f32_16x16x16_bf16 a[144:147], a[104:105], v[86:87], a[144:147]// 0000000068CC: D3E18090 0E42AD68
	v_mfma_f32_16x16x16_bf16 a[148:151], a[106:107], v[86:87], a[148:151]// 0000000068D4: D3E18094 0E52AD6A
	ds_write_b32 v15, v107 offset:16288                        // 0000000068DC: D81A3FA0 00006B0F
	v_mfma_f32_16x16x16_bf16 a[152:155], a[108:109], v[86:87], a[152:155]// 0000000068E4: D3E18098 0E62AD6C
	v_mfma_f32_16x16x16_bf16 a[156:159], a[110:111], v[86:87], a[156:159]// 0000000068EC: D3E1809C 0E72AD6E
	s_waitcnt vmcnt(8) lgkmcnt(4)                              // 0000000068F4: BF8C0478
	s_barrier                                                  // 0000000068F8: BF8A0000
	v_mfma_f32_16x16x16_bf16 v[148:151], v[52:53], a[24:25], 0 // 0000000068FC: D3E10094 12023134
	v_mul_f32_e32 v140, s48, v140                              // 000000006904: 0B191830
	v_mul_f32_e32 v144, s48, v144                              // 000000006908: 0B212030
	s_nop 0                                                    // 00000000690C: BF800000
	v_mfma_f32_16x16x16_bf16 v[148:151], v[54:55], a[28:29], v[148:151]// 000000006910: D3E10094 16523936
	ds_read_b128 a[96:99], v12                                 // 000000006918: DBFE0000 6000000C
	buffer_load_dword v40, v1, s[8:11], 0 idxen                // 000000006920: E0502000 80022801
	v_mfma_f32_16x16x16_bf16 v[148:151], v[56:57], a[32:33], v[148:151]// 000000006928: D3E10094 16524138
	v_mfma_f32_16x16x16_bf16 v[148:151], v[58:59], a[36:37], v[148:151]// 000000006930: D3E10094 1652493A
	ds_read_b128 a[100:103], v12 offset:512                    // 000000006938: DBFE0200 6400000C
	buffer_load_dword v41, v2, s[8:11], 0 idxen                // 000000006940: E0502000 80022902
	v_mfma_f32_16x16x16_bf16 v[148:151], v[60:61], a[40:41], v[148:151]// 000000006948: D3E10094 1652513C
	v_perm_b32 v100, v37, v36, s63                             // 000000006950: D1ED0064 00FE4925
	v_perm_b32 v101, v37, v36, s64                             // 000000006958: D1ED0065 01024925
	v_mfma_f32_16x16x16_bf16 v[148:151], v[62:63], a[44:45], v[148:151]// 000000006960: D3E10094 1652593E
	ds_read_b128 a[104:107], v12 offset:2176                   // 000000006968: DBFE0880 6800000C
	buffer_load_dword v42, v3, s[8:11], 0 idxen                // 000000006970: E0502000 80022A03
	v_mfma_f32_16x16x16_bf16 v[148:151], v[64:65], a[48:49], v[148:151]// 000000006978: D3E10094 16526140
	v_perm_b32 v102, v39, v38, s63                             // 000000006980: D1ED0066 00FE4D27
	v_perm_b32 v103, v39, v38, s64                             // 000000006988: D1ED0067 01024D27
	v_mfma_f32_16x16x16_bf16 v[148:151], v[66:67], a[52:53], v[148:151]// 000000006990: D3E10094 16526942
	ds_read_b128 a[108:111], v12 offset:2688                   // 000000006998: DBFE0A80 6C00000C
	buffer_load_dword v43, v4, s[8:11], 0 idxen                // 0000000069A0: E0502000 80022B04
	v_mfma_f32_16x16x16_bf16 v[148:151], v[68:69], a[56:57], v[148:151]// 0000000069A8: D3E10094 16527144
	v_perm_b32 v104, v45, v44, s63                             // 0000000069B0: D1ED0068 00FE592D
	v_perm_b32 v105, v45, v44, s64                             // 0000000069B8: D1ED0069 0102592D
	v_mfma_f32_16x16x16_bf16 v[148:151], v[70:71], a[60:61], v[148:151]// 0000000069C0: D3E10094 16527946
	ds_read_b128 v[108:111], v12 offset:8704                   // 0000000069C8: D9FE2200 6C00000C
	buffer_load_dword v48, v232, s[20:23], 0 idxen             // 0000000069D0: E0502000 800530E8
	v_mfma_f32_16x16x16_bf16 v[148:151], v[72:73], a[64:65], v[148:151]// 0000000069D8: D3E10094 16528148
	v_perm_b32 v106, v47, v46, s63                             // 0000000069E0: D1ED006A 00FE5D2F
	v_perm_b32 v107, v47, v46, s64                             // 0000000069E8: D1ED006B 01025D2F
	v_mfma_f32_16x16x16_bf16 v[148:151], v[74:75], a[68:69], v[148:151]// 0000000069F0: D3E10094 1652894A
	ds_read_b128 v[112:115], v12 offset:9216                   // 0000000069F8: D9FE2400 7000000C
	buffer_load_dword v49, v233, s[20:23], 0 idxen             // 000000006A00: E0502000 800531E9
	v_mfma_f32_16x16x16_bf16 v[152:155], v[52:53], a[26:27], 0 // 000000006A08: D3E10098 12023534
	v_mov_b32_dpp v143, v140 quad_perm:[3,3,3,3] row_mask:0xf bank_mask:0xf// 000000006A10: 7F1E02FA FF00FF8C
	v_mov_b32_dpp v142, v140 quad_perm:[2,2,2,2] row_mask:0xf bank_mask:0xf// 000000006A18: 7F1C02FA FF00AA8C
	v_mov_b32_dpp v141, v140 quad_perm:[1,1,1,1] row_mask:0xf bank_mask:0xf// 000000006A20: 7F1A02FA FF00558C
	v_mov_b32_dpp v140, v140 quad_perm:[0,0,0,0] row_mask:0xf bank_mask:0xf// 000000006A28: 7F1802FA FF00008C
	v_mfma_f32_16x16x16_bf16 v[152:155], v[54:55], a[30:31], v[152:155]// 000000006A30: D3E10098 16623D36
	ds_read_b128 v[116:119], v12 offset:10880                  // 000000006A38: D9FE2A80 7400000C
	buffer_load_dword v50, v234, s[20:23], 0 idxen             // 000000006A40: E0502000 800532EA
	v_mfma_f32_16x16x16_bf16 v[152:155], v[56:57], a[34:35], v[152:155]// 000000006A48: D3E10098 16624538
	v_mov_b32_dpp v147, v144 quad_perm:[3,3,3,3] row_mask:0xf bank_mask:0xf// 000000006A50: 7F2602FA FF00FF90
	v_mov_b32_dpp v146, v144 quad_perm:[2,2,2,2] row_mask:0xf bank_mask:0xf// 000000006A58: 7F2402FA FF00AA90
	v_mov_b32_dpp v145, v144 quad_perm:[1,1,1,1] row_mask:0xf bank_mask:0xf// 000000006A60: 7F2202FA FF005590
	v_mov_b32_dpp v144, v144 quad_perm:[0,0,0,0] row_mask:0xf bank_mask:0xf// 000000006A68: 7F2002FA FF000090
	s_add_u32 s60, 0x80, s59                                   // 000000006A70: 803C3BFF 00000080
	v_mfma_f32_16x16x16_bf16 v[152:155], v[58:59], a[38:39], v[152:155]// 000000006A78: D3E10098 16624D3A
	ds_read_b128 v[120:123], v12 offset:11392                  // 000000006A80: D9FE2C80 7800000C
	buffer_load_dword v51, v235, s[20:23], 0 idxen             // 000000006A88: E0502000 800533EB
	v_mfma_f32_16x16x16_bf16 v[152:155], v[60:61], a[42:43], v[152:155]// 000000006A90: D3E10098 1662553C
	s_cmp_lt_u32 s60, s58                                      // 000000006A98: BF0A3A3C
	s_cselect_b32 s68, s68, 0                                  // 000000006A9C: 85448044
	s_cselect_b32 s99, s99, 0                                  // 000000006AA0: 85638063
	s_cselect_b32 s69, s69, 0                                  // 000000006AA4: 85458045
	v_mfma_f32_16x16x16_bf16 v[152:155], v[62:63], a[46:47], v[152:155]// 000000006AA8: D3E10098 16625D3E
	buffer_load_dword v11, s[24:27], 0 idxen lds               // 000000006AB0: E0512000 8006000B
	v_mfma_f32_16x16x16_bf16 v[152:155], v[64:65], a[50:51], v[152:155]// 000000006AB8: D3E10098 16626540
	v_add_u32_e32 v1, s68, v1                                  // 000000006AC0: 68020244
	v_add_u32_e32 v2, s68, v2                                  // 000000006AC4: 68040444
	v_add_u32_e32 v3, s68, v3                                  // 000000006AC8: 68060644
	v_add_u32_e32 v4, s68, v4                                  // 000000006ACC: 68080844
	v_mfma_f32_16x16x16_bf16 v[152:155], v[66:67], a[54:55], v[152:155]// 000000006AD0: D3E10098 16626D42
	v_add_u32_e32 v232, s99, v232                              // 000000006AD8: 69D1D063
	v_add_u32_e32 v233, s99, v233                              // 000000006ADC: 69D3D263
	v_add_u32_e32 v234, s99, v234                              // 000000006AE0: 69D5D463
	v_add_u32_e32 v235, s99, v235                              // 000000006AE4: 69D7D663
	v_mfma_f32_16x16x16_bf16 v[152:155], v[68:69], a[58:59], v[152:155]// 000000006AE8: D3E10098 16627544
	s_mov_b32 m0, s80                                          // 000000006AF0: BEFC0050
	v_add_u32_e32 v11, s69, v11                                // 000000006AF4: 68161645
	v_mfma_f32_16x16x16_bf16 v[152:155], v[70:71], a[62:63], v[152:155]// 000000006AF8: D3E10098 16627D46
	s_cmp_ge_u32 s59, s73                                      // 000000006B00: BF09493B
	s_cselect_b32 s66, s67, s66                                // 000000006B04: 85424243
	v_mfma_f32_16x16x16_bf16 v[152:155], v[72:73], a[66:67], v[152:155]// 000000006B08: D3E10098 16628548
	s_addk_i32 s59, 0x20                                       // 000000006B10: B73B0020
	s_nop 0                                                    // 000000006B14: BF800000
	s_cmp_lt_i32 s59, s58                                      // 000000006B18: BF043A3B
	v_mfma_f32_16x16x16_bf16 v[152:155], v[74:75], a[70:71], v[152:155]// 000000006B1C: D3E10098 16628D4A
	s_cbranch_scc0 label_1041                                  // 000000006B24: BF8404E5
	s_waitcnt lgkmcnt(0)                                       // 000000006B28: BF8CC07F
	s_barrier                                                  // 000000006B2C: BF8A0000
	v_mfma_f32_16x16x16_bf16 v[52:55], a[96:97], a[0:1], 0     // 000000006B30: D3E10034 1A020160
	ds_write_b32 v13, v44 offset:8704                          // 000000006B38: D81A2200 00002C0D
	ds_write_b32 v13, v45 offset:9760                          // 000000006B40: D81A2620 00002D0D
	v_mfma_f32_16x16x16_bf16 v[52:55], a[98:99], a[2:3], v[52:55]// 000000006B48: D3E10034 1CD20562
	v_mul_f32_e32 v148, s47, v148                              // 000000006B50: 0B29282F
	v_mul_f32_e32 v149, s47, v149                              // 000000006B54: 0B2B2A2F
	v_mfma_f32_16x16x16_bf16 v[52:55], a[100:101], a[4:5], v[52:55]// 000000006B58: D3E10034 1CD20964
	ds_write_b32 v13, v46 offset:10880                         // 000000006B60: D81A2A80 00002E0D
	ds_write_b32 v13, v47 offset:11936                         // 000000006B68: D81A2EA0 00002F0D
	v_mfma_f32_16x16x16_bf16 v[52:55], a[102:103], a[6:7], v[52:55]// 000000006B70: D3E10034 1CD20D66
	v_mul_f32_e32 v150, s47, v150                              // 000000006B78: 0B2D2C2F
	v_mul_f32_e32 v151, s47, v151                              // 000000006B7C: 0B2F2E2F
	v_mfma_f32_16x16x16_bf16 v[56:59], a[96:97], a[8:9], 0     // 000000006B80: D3E10038 1A021160
	ds_write_b64 v22, v[148:149] offset:31232                  // 000000006B88: D89A7A00 00009416
	v_mfma_f32_16x16x16_bf16 v[56:59], a[98:99], a[10:11], v[56:59]// 000000006B90: D3E10038 1CE21562
	v_mul_f32_e32 v152, s47, v152                              // 000000006B98: 0B31302F
	v_mul_f32_e32 v153, s47, v153                              // 000000006B9C: 0B33322F
	v_mfma_f32_16x16x16_bf16 v[56:59], a[100:101], a[12:13], v[56:59]// 000000006BA0: D3E10038 1CE21964
	ds_write_b64 v22, v[150:151] offset:31744                  // 000000006BA8: D89A7C00 00009616
	v_mfma_f32_16x16x16_bf16 v[56:59], a[102:103], a[14:15], v[56:59]// 000000006BB0: D3E10038 1CE21D66
	v_mul_f32_e32 v154, s47, v154                              // 000000006BB8: 0B35342F
	v_mul_f32_e32 v155, s47, v155                              // 000000006BBC: 0B37362F
	v_mfma_f32_16x16x16_bf16 v[60:63], a[96:97], a[16:17], 0   // 000000006BC0: D3E1003C 1A022160
	ds_write_b64 v22, v[152:153] offset:32256                  // 000000006BC8: D89A7E00 00009816
	v_mfma_f32_16x16x16_bf16 v[60:63], a[98:99], a[18:19], v[60:63]// 000000006BD0: D3E1003C 1CF22562
	buffer_atomic_add_f32 v160, v8, s[32:35], 0 idxen          // 000000006BD8: E1342000 8008A008
	v_mfma_f32_16x16x16_bf16 v[60:63], a[100:101], a[20:21], v[60:63]// 000000006BE0: D3E1003C 1CF22964
	ds_write_b64 v22, v[154:155] offset:32768                  // 000000006BE8: D89A8000 00009A16
	v_mfma_f32_16x16x16_bf16 v[60:63], a[102:103], a[22:23], v[60:63]// 000000006BF0: D3E1003C 1CF22D66
	v_mfma_f32_16x16x16_bf16 v[64:67], a[104:105], a[0:1], 0   // 000000006BF8: D3E10040 1A020168
	ds_read_b128 v[124:127], v14 offset:13056                  // 000000006C00: D9FE3300 7C00000E
	ds_write_b32 v13, v36                                      // 000000006C08: D81A0000 0000240D
	v_mfma_f32_16x16x16_bf16 v[64:67], a[106:107], a[2:3], v[64:67]// 000000006C10: D3E10040 1D02056A
	buffer_atomic_add_f32 v161, v9, s[32:35], 0 idxen          // 000000006C18: E1342000 8008A109
	v_mfma_f32_16x16x16_bf16 v[64:67], a[108:109], a[4:5], v[64:67]// 000000006C20: D3E10040 1D02096C
	v_mfma_f32_16x16x16_bf16 v[64:67], a[110:111], a[6:7], v[64:67]// 000000006C28: D3E10040 1D020D6E
	ds_read_b128 v[128:131], v14 offset:13568                  // 000000006C30: D9FE3500 8000000E
	ds_write_b32 v13, v37 offset:1056                          // 000000006C38: D81A0420 0000250D
	v_mfma_f32_16x16x16_bf16 v[68:71], a[104:105], a[8:9], 0   // 000000006C40: D3E10044 1A021168
	buffer_atomic_add_f32 v162, v8, s[32:35], 0 idxen offset:128// 000000006C48: E1342080 8008A208
	v_mfma_f32_16x16x16_bf16 v[68:71], a[106:107], a[10:11], v[68:71]// 000000006C50: D3E10044 1D12156A
	v_mfma_f32_16x16x16_bf16 v[68:71], a[108:109], a[12:13], v[68:71]// 000000006C58: D3E10044 1D12196C
	ds_read_b128 v[132:135], v14 offset:15232                  // 000000006C60: D9FE3B80 8400000E
	ds_write_b32 v13, v38 offset:2176                          // 000000006C68: D81A0880 0000260D
	v_mfma_f32_16x16x16_bf16 v[68:71], a[110:111], a[14:15], v[68:71]// 000000006C70: D3E10044 1D121D6E
	v_mfma_f32_16x16x16_bf16 v[72:75], a[104:105], a[16:17], 0 // 000000006C78: D3E10048 1A022168
	buffer_atomic_add_f32 v163, v9, s[32:35], 0 idxen offset:128// 000000006C80: E1342080 8008A309
	v_mfma_f32_16x16x16_bf16 v[72:75], a[106:107], a[18:19], v[72:75]// 000000006C88: D3E10048 1D22256A
	ds_read_b128 v[136:139], v14 offset:15744                  // 000000006C90: D9FE3D80 8800000E
	ds_write_b32 v13, v39 offset:3232                          // 000000006C98: D81A0CA0 0000270D
	v_mfma_f32_16x16x16_bf16 v[72:75], a[108:109], a[20:21], v[72:75]// 000000006CA0: D3E10048 1D22296C
	v_mfma_f32_16x16x16_bf16 v[72:75], a[110:111], a[22:23], v[72:75]// 000000006CA8: D3E10048 1D222D6E
	s_cmp_eq_i32 s94, 0                                        // 000000006CB0: BF00805E
	s_cbranch_scc1 label_0CB0                                  // 000000006CB4: BF8500F0
	s_cmp_lt_i32 s74, 6                                        // 000000006CB8: BF04864A
	s_cbranch_scc0 label_0C37                                  // 000000006CBC: BF84007E
	s_lshl_b32 s60, s74, 5                                     // 000000006CC0: 8E3C854A
	s_lshl_b32 s61, 0, 4                                       // 000000006CC4: 8E3D8480
	s_add_i32 s60, s60, s61                                    // 000000006CC8: 813C3D3C
	v_sub_i32 v32, v236, s60                                   // 000000006CCC: D29D0020 000079EC
	s_mov_b32 s61, 0                                           // 000000006CD4: BEBD0080
	v_add_i32 v33, v32, s61                                    // 000000006CD8: D29C0021 00007B20
	v_cmp_gt_i32_e64 s[90:91], v33, 0                          // 000000006CE0: D0C4005A 00010121
	v_cmp_gt_i32_e64 s[92:93], v33, 1                          // 000000006CE8: D0C4005C 00010321
	v_cndmask_b32_e64 v52, v52, v178, s[90:91]                 // 000000006CF0: D1000034 016B6534
	v_cndmask_b32_e64 v53, v53, v178, s[92:93]                 // 000000006CF8: D1000035 01736535
	v_cmp_gt_i32_e64 s[90:91], v33, 2                          // 000000006D00: D0C4005A 00010521
	v_cmp_gt_i32_e64 s[92:93], v33, 3                          // 000000006D08: D0C4005C 00010721
	v_cndmask_b32_e64 v54, v54, v178, s[90:91]                 // 000000006D10: D1000036 016B6536
	v_cndmask_b32_e64 v55, v55, v178, s[92:93]                 // 000000006D18: D1000037 01736537
	s_mov_b32 s61, 64                                          // 000000006D20: BEBD00C0
	v_add_i32 v33, v32, s61                                    // 000000006D24: D29C0021 00007B20
	v_cmp_gt_i32_e64 s[90:91], v33, 0                          // 000000006D2C: D0C4005A 00010121
	v_cmp_gt_i32_e64 s[92:93], v33, 1                          // 000000006D34: D0C4005C 00010321
	v_cndmask_b32_e64 v56, v56, v178, s[90:91]                 // 000000006D3C: D1000038 016B6538
	v_cndmask_b32_e64 v57, v57, v178, s[92:93]                 // 000000006D44: D1000039 01736539
	v_cmp_gt_i32_e64 s[90:91], v33, 2                          // 000000006D4C: D0C4005A 00010521
	v_cmp_gt_i32_e64 s[92:93], v33, 3                          // 000000006D54: D0C4005C 00010721
	v_cndmask_b32_e64 v58, v58, v178, s[90:91]                 // 000000006D5C: D100003A 016B653A
	v_cndmask_b32_e64 v59, v59, v178, s[92:93]                 // 000000006D64: D100003B 0173653B
	s_mov_b32 s61, 0x80                                        // 000000006D6C: BEBD00FF 00000080
	v_add_i32 v33, v32, s61                                    // 000000006D74: D29C0021 00007B20
	v_cmp_gt_i32_e64 s[90:91], v33, 0                          // 000000006D7C: D0C4005A 00010121
	v_cmp_gt_i32_e64 s[92:93], v33, 1                          // 000000006D84: D0C4005C 00010321
	v_cndmask_b32_e64 v60, v60, v178, s[90:91]                 // 000000006D8C: D100003C 016B653C
	v_cndmask_b32_e64 v61, v61, v178, s[92:93]                 // 000000006D94: D100003D 0173653D
	v_cmp_gt_i32_e64 s[90:91], v33, 2                          // 000000006D9C: D0C4005A 00010521
	v_cmp_gt_i32_e64 s[92:93], v33, 3                          // 000000006DA4: D0C4005C 00010721
	v_cndmask_b32_e64 v62, v62, v178, s[90:91]                 // 000000006DAC: D100003E 016B653E
	v_cndmask_b32_e64 v63, v63, v178, s[92:93]                 // 000000006DB4: D100003F 0173653F
	s_lshl_b32 s60, s74, 5                                     // 000000006DBC: 8E3C854A
	s_lshl_b32 s61, 1, 4                                       // 000000006DC0: 8E3D8481
	s_add_i32 s60, s60, s61                                    // 000000006DC4: 813C3D3C
	v_sub_i32 v32, v236, s60                                   // 000000006DC8: D29D0020 000079EC
	s_mov_b32 s61, 0                                           // 000000006DD0: BEBD0080
	v_add_i32 v33, v32, s61                                    // 000000006DD4: D29C0021 00007B20
	v_cmp_gt_i32_e64 s[90:91], v33, 0                          // 000000006DDC: D0C4005A 00010121
	v_cmp_gt_i32_e64 s[92:93], v33, 1                          // 000000006DE4: D0C4005C 00010321
	v_cndmask_b32_e64 v64, v64, v178, s[90:91]                 // 000000006DEC: D1000040 016B6540
	v_cndmask_b32_e64 v65, v65, v178, s[92:93]                 // 000000006DF4: D1000041 01736541
	v_cmp_gt_i32_e64 s[90:91], v33, 2                          // 000000006DFC: D0C4005A 00010521
	v_cmp_gt_i32_e64 s[92:93], v33, 3                          // 000000006E04: D0C4005C 00010721
	v_cndmask_b32_e64 v66, v66, v178, s[90:91]                 // 000000006E0C: D1000042 016B6542
	v_cndmask_b32_e64 v67, v67, v178, s[92:93]                 // 000000006E14: D1000043 01736543
	s_mov_b32 s61, 64                                          // 000000006E1C: BEBD00C0
	v_add_i32 v33, v32, s61                                    // 000000006E20: D29C0021 00007B20
	v_cmp_gt_i32_e64 s[90:91], v33, 0                          // 000000006E28: D0C4005A 00010121
	v_cmp_gt_i32_e64 s[92:93], v33, 1                          // 000000006E30: D0C4005C 00010321
	v_cndmask_b32_e64 v68, v68, v178, s[90:91]                 // 000000006E38: D1000044 016B6544
	v_cndmask_b32_e64 v69, v69, v178, s[92:93]                 // 000000006E40: D1000045 01736545
	v_cmp_gt_i32_e64 s[90:91], v33, 2                          // 000000006E48: D0C4005A 00010521
	v_cmp_gt_i32_e64 s[92:93], v33, 3                          // 000000006E50: D0C4005C 00010721
	v_cndmask_b32_e64 v70, v70, v178, s[90:91]                 // 000000006E58: D1000046 016B6546
	v_cndmask_b32_e64 v71, v71, v178, s[92:93]                 // 000000006E60: D1000047 01736547
	s_mov_b32 s61, 0x80                                        // 000000006E68: BEBD00FF 00000080
	v_add_i32 v33, v32, s61                                    // 000000006E70: D29C0021 00007B20
	v_cmp_gt_i32_e64 s[90:91], v33, 0                          // 000000006E78: D0C4005A 00010121
	v_cmp_gt_i32_e64 s[92:93], v33, 1                          // 000000006E80: D0C4005C 00010321
	v_cndmask_b32_e64 v72, v72, v178, s[90:91]                 // 000000006E88: D1000048 016B6548
	v_cndmask_b32_e64 v73, v73, v178, s[92:93]                 // 000000006E90: D1000049 01736549
	v_cmp_gt_i32_e64 s[90:91], v33, 2                          // 000000006E98: D0C4005A 00010521
	v_cmp_gt_i32_e64 s[92:93], v33, 3                          // 000000006EA0: D0C4005C 00010721
	v_cndmask_b32_e64 v74, v74, v178, s[90:91]                 // 000000006EA8: D100004A 016B654A
	v_cndmask_b32_e64 v75, v75, v178, s[92:93]                 // 000000006EB0: D100004B 0173654B

0000000000006eb8 <label_0C37>:
	s_cmp_lt_i32 s101, 0xc0                                    // 000000006EB8: BF04FF65 000000C0
	s_cbranch_scc0 label_0CB0                                  // 000000006EC0: BF84006D
	s_cmp_le_i32 s101, 64                                      // 000000006EC4: BF05C065
	s_cbranch_scc1 label_0C43                                  // 000000006EC8: BF850007
	s_cmp_le_i32 s101, 0x80                                    // 000000006ECC: BF05FF65 00000080
	s_cbranch_scc1 label_0C67                                  // 000000006ED4: BF85001F
	s_cmp_lt_i32 s101, 0xc0                                    // 000000006ED8: BF04FF65 000000C0
	s_cbranch_scc1 label_0C8B                                  // 000000006EE0: BF850040
	s_branch label_0CB0                                        // 000000006EE4: BF820064

0000000000006ee8 <label_0C43>:
	s_mov_b32 s60, 0                                           // 000000006EE8: BEBC0080
	v_and_b32_e32 v32, 15, v0                                  // 000000006EEC: 2640008F
	v_add_u32_e64 v32, v32, s60                                // 000000006EF0: D1340020 00007920
	v_mul_i32_i24_e64 v33, s46, 16                             // 000000006EF8: D1060021 0001202E
	v_add_u32_e32 v32, v32, v33                                // 000000006F00: 68404320
	v_cmp_lt_u32_e64 s[60:61], v32, s101                       // 000000006F04: D0C9003C 0000CB20
	s_nop 1                                                    // 000000006F0C: BF800001
	v_cndmask_b32_e64 v52, v178, v52, s[60:61]                 // 000000006F10: D1000034 00F269B2
	v_cndmask_b32_e64 v64, v178, v64, s[60:61]                 // 000000006F18: D1000040 00F281B2
	v_cndmask_b32_e64 v53, v178, v53, s[60:61]                 // 000000006F20: D1000035 00F26BB2
	v_cndmask_b32_e64 v65, v178, v65, s[60:61]                 // 000000006F28: D1000041 00F283B2
	v_cndmask_b32_e64 v54, v178, v54, s[60:61]                 // 000000006F30: D1000036 00F26DB2
	v_cndmask_b32_e64 v66, v178, v66, s[60:61]                 // 000000006F38: D1000042 00F285B2
	v_cndmask_b32_e64 v55, v178, v55, s[60:61]                 // 000000006F40: D1000037 00F26FB2
	v_cndmask_b32_e64 v67, v178, v67, s[60:61]                 // 000000006F48: D1000043 00F287B2
	s_branch label_0C82                                        // 000000006F50: BF82001B

0000000000006f54 <label_0C67>:
	s_mov_b32 s60, 64                                          // 000000006F54: BEBC00C0
	v_and_b32_e32 v32, 15, v0                                  // 000000006F58: 2640008F
	v_add_u32_e64 v32, v32, s60                                // 000000006F5C: D1340020 00007920
	v_mul_i32_i24_e64 v33, s46, 16                             // 000000006F64: D1060021 0001202E
	v_add_u32_e32 v32, v32, v33                                // 000000006F6C: 68404320
	v_cmp_lt_u32_e64 s[60:61], v32, s101                       // 000000006F70: D0C9003C 0000CB20
	s_nop 1                                                    // 000000006F78: BF800001
	v_cndmask_b32_e64 v56, v178, v56, s[60:61]                 // 000000006F7C: D1000038 00F271B2
	v_cndmask_b32_e64 v68, v178, v68, s[60:61]                 // 000000006F84: D1000044 00F289B2
	v_cndmask_b32_e64 v57, v178, v57, s[60:61]                 // 000000006F8C: D1000039 00F273B2
	v_cndmask_b32_e64 v69, v178, v69, s[60:61]                 // 000000006F94: D1000045 00F28BB2
	v_cndmask_b32_e64 v58, v178, v58, s[60:61]                 // 000000006F9C: D100003A 00F275B2
	v_cndmask_b32_e64 v70, v178, v70, s[60:61]                 // 000000006FA4: D1000046 00F28DB2
	v_cndmask_b32_e64 v59, v178, v59, s[60:61]                 // 000000006FAC: D100003B 00F277B2
	v_cndmask_b32_e64 v71, v178, v71, s[60:61]                 // 000000006FB4: D1000047 00F28FB2
	s_branch label_0CA7                                        // 000000006FBC: BF820025

0000000000006fc0 <label_0C82>:
	v_mov_b32_e32 v56, v178                                    // 000000006FC0: 7E7003B2
	v_mov_b32_e32 v68, v178                                    // 000000006FC4: 7E8803B2
	v_mov_b32_e32 v57, v178                                    // 000000006FC8: 7E7203B2
	v_mov_b32_e32 v69, v178                                    // 000000006FCC: 7E8A03B2
	v_mov_b32_e32 v58, v178                                    // 000000006FD0: 7E7403B2
	v_mov_b32_e32 v70, v178                                    // 000000006FD4: 7E8C03B2
	v_mov_b32_e32 v59, v178                                    // 000000006FD8: 7E7603B2
	v_mov_b32_e32 v71, v178                                    // 000000006FDC: 7E8E03B2
	s_branch label_0CA7                                        // 000000006FE0: BF82001C

0000000000006fe4 <label_0C8B>:
	s_mov_b32 s60, 0x80                                        // 000000006FE4: BEBC00FF 00000080
	v_and_b32_e32 v32, 15, v0                                  // 000000006FEC: 2640008F
	v_add_u32_e64 v32, v32, s60                                // 000000006FF0: D1340020 00007920
	v_mul_i32_i24_e64 v33, s46, 16                             // 000000006FF8: D1060021 0001202E
	v_add_u32_e32 v32, v32, v33                                // 000000007000: 68404320
	v_cmp_lt_u32_e64 s[60:61], v32, s101                       // 000000007004: D0C9003C 0000CB20
	s_nop 1                                                    // 00000000700C: BF800001
	v_cndmask_b32_e64 v60, v178, v60, s[60:61]                 // 000000007010: D100003C 00F279B2
	v_cndmask_b32_e64 v72, v178, v72, s[60:61]                 // 000000007018: D1000048 00F291B2
	v_cndmask_b32_e64 v61, v178, v61, s[60:61]                 // 000000007020: D100003D 00F27BB2
	v_cndmask_b32_e64 v73, v178, v73, s[60:61]                 // 000000007028: D1000049 00F293B2
	v_cndmask_b32_e64 v62, v178, v62, s[60:61]                 // 000000007030: D100003E 00F27DB2
	v_cndmask_b32_e64 v74, v178, v74, s[60:61]                 // 000000007038: D100004A 00F295B2
	v_cndmask_b32_e64 v63, v178, v63, s[60:61]                 // 000000007040: D100003F 00F27FB2
	v_cndmask_b32_e64 v75, v178, v75, s[60:61]                 // 000000007048: D100004B 00F297B2
	s_branch label_0CB0                                        // 000000007050: BF820009

0000000000007054 <label_0CA7>:
	v_mov_b32_e32 v60, v178                                    // 000000007054: 7E7803B2
	v_mov_b32_e32 v72, v178                                    // 000000007058: 7E9003B2
	v_mov_b32_e32 v61, v178                                    // 00000000705C: 7E7A03B2
	v_mov_b32_e32 v73, v178                                    // 000000007060: 7E9203B2
	v_mov_b32_e32 v62, v178                                    // 000000007064: 7E7C03B2
	v_mov_b32_e32 v74, v178                                    // 000000007068: 7E9403B2
	v_mov_b32_e32 v63, v178                                    // 00000000706C: 7E7E03B2
	v_mov_b32_e32 v75, v178                                    // 000000007070: 7E9603B2
	s_branch label_0CB0                                        // 000000007074: BF820000

0000000000007078 <label_0CB0>:
	s_addk_i32 s74, 0x1                                        // 000000007078: B74A0001
	s_waitcnt lgkmcnt(8)                                       // 00000000707C: BF8CC87F
	s_barrier                                                  // 000000007080: BF8A0000
	v_mfma_f32_16x16x16_bf16 v[76:79], v[108:109], a[72:73], 0 // 000000007084: D3E1004C 1202916C
	ds_read_b128 a[96:99], v14 offset:4352                     // 00000000708C: DBFE1100 6000000E
	ds_read_b128 a[100:103], v14 offset:4864                   // 000000007094: DBFE1300 6400000E
	v_mfma_f32_16x16x16_bf16 v[76:79], v[110:111], a[74:75], v[76:79]// 00000000709C: D3E1004C 1532956E
	v_fma_f32 v52, v52, s57, -v140                             // 0000000070A4: D1CB0034 86307334
	v_fma_f32 v53, v53, s57, -v141                             // 0000000070AC: D1CB0035 86347335
	v_fma_f32 v54, v54, s57, -v142                             // 0000000070B4: D1CB0036 86387336
	v_fma_f32 v55, v55, s57, -v143                             // 0000000070BC: D1CB0037 863C7337
	v_fma_f32 v56, v56, s57, -v140                             // 0000000070C4: D1CB0038 86307338
	v_fma_f32 v57, v57, s57, -v141                             // 0000000070CC: D1CB0039 86347339
	v_mfma_f32_16x16x16_bf16 v[76:79], v[112:113], a[76:77], v[76:79]// 0000000070D4: D3E1004C 15329970
	v_fma_f32 v58, v58, s57, -v142                             // 0000000070DC: D1CB003A 8638733A
	v_fma_f32 v59, v59, s57, -v143                             // 0000000070E4: D1CB003B 863C733B
	v_fma_f32 v60, v60, s57, -v140                             // 0000000070EC: D1CB003C 8630733C
	v_fma_f32 v61, v61, s57, -v141                             // 0000000070F4: D1CB003D 8634733D
	v_fma_f32 v62, v62, s57, -v142                             // 0000000070FC: D1CB003E 8638733E
	v_fma_f32 v63, v63, s57, -v143                             // 000000007104: D1CB003F 863C733F
	v_mfma_f32_16x16x16_bf16 v[76:79], v[114:115], a[78:79], v[76:79]// 00000000710C: D3E1004C 15329D72
	v_fma_f32 v64, v64, s57, -v144                             // 000000007114: D1CB0040 86407340
	v_fma_f32 v65, v65, s57, -v145                             // 00000000711C: D1CB0041 86447341
	v_fma_f32 v66, v66, s57, -v146                             // 000000007124: D1CB0042 86487342
	v_fma_f32 v67, v67, s57, -v147                             // 00000000712C: D1CB0043 864C7343
	v_fma_f32 v68, v68, s57, -v144                             // 000000007134: D1CB0044 86407344
	v_fma_f32 v69, v69, s57, -v145                             // 00000000713C: D1CB0045 86447345
	v_mfma_f32_16x16x16_bf16 v[80:83], v[108:109], a[80:81], 0 // 000000007144: D3E10050 1202A16C
	ds_read_b128 a[104:107], v14 offset:6528                   // 00000000714C: DBFE1980 6800000E
	ds_read_b128 a[108:111], v14 offset:7040                   // 000000007154: DBFE1B80 6C00000E
	v_mfma_f32_16x16x16_bf16 v[80:83], v[110:111], a[82:83], v[80:83]// 00000000715C: D3E10050 1542A56E
	v_fma_f32 v70, v70, s57, -v146                             // 000000007164: D1CB0046 86487346
	v_fma_f32 v71, v71, s57, -v147                             // 00000000716C: D1CB0047 864C7347
	v_fma_f32 v72, v72, s57, -v144                             // 000000007174: D1CB0048 86407348
	v_fma_f32 v73, v73, s57, -v145                             // 00000000717C: D1CB0049 86447349
	v_fma_f32 v74, v74, s57, -v146                             // 000000007184: D1CB004A 8648734A
	v_fma_f32 v75, v75, s57, -v147                             // 00000000718C: D1CB004B 864C734B
	v_mfma_f32_16x16x16_bf16 v[80:83], v[112:113], a[84:85], v[80:83]// 000000007194: D3E10050 1542A970
	v_exp_f32_e32 v52, v52                                     // 00000000719C: 7E684134
	v_exp_f32_e32 v53, v53                                     // 0000000071A0: 7E6A4135
	v_mfma_f32_16x16x16_bf16 v[80:83], v[114:115], a[86:87], v[80:83]// 0000000071A4: D3E10050 1542AD72
	v_exp_f32_e32 v54, v54                                     // 0000000071AC: 7E6C4136
	v_exp_f32_e32 v55, v55                                     // 0000000071B0: 7E6E4137
	v_mfma_f32_16x16x16_bf16 v[84:87], v[108:109], a[88:89], 0 // 0000000071B4: D3E10054 1202B16C
	ds_read_b64 v[156:157], v21 offset:31232                   // 0000000071BC: D8EC7A00 9C000015
	ds_read_b64 v[158:159], v21 offset:33280                   // 0000000071C4: D8EC8200 9E000015
	v_mfma_f32_16x16x16_bf16 v[84:87], v[110:111], a[90:91], v[84:87]// 0000000071CC: D3E10054 1552B56E
	v_exp_f32_e32 v56, v56                                     // 0000000071D4: 7E704138
	v_exp_f32_e32 v57, v57                                     // 0000000071D8: 7E724139
	v_mfma_f32_16x16x16_bf16 v[84:87], v[112:113], a[92:93], v[84:87]// 0000000071DC: D3E10054 1552B970
	ds_read_b64 v[160:161], v21 offset:35328                   // 0000000071E4: D8EC8A00 A0000015
	ds_read_b64 v[162:163], v21 offset:37376                   // 0000000071EC: D8EC9200 A2000015
	v_mfma_f32_16x16x16_bf16 v[84:87], v[114:115], a[94:95], v[84:87]// 0000000071F4: D3E10054 1552BD72
	v_exp_f32_e32 v58, v58                                     // 0000000071FC: 7E74413A
	v_exp_f32_e32 v59, v59                                     // 000000007200: 7E76413B
	v_mfma_f32_16x16x16_bf16 v[88:91], v[116:117], a[72:73], 0 // 000000007204: D3E10058 12029174
	v_exp_f32_e32 v60, v60                                     // 00000000720C: 7E78413C
	v_exp_f32_e32 v61, v61                                     // 000000007210: 7E7A413D
	v_mfma_f32_16x16x16_bf16 v[88:91], v[118:119], a[74:75], v[88:91]// 000000007214: D3E10058 15629576
	v_exp_f32_e32 v62, v62                                     // 00000000721C: 7E7C413E
	v_exp_f32_e32 v63, v63                                     // 000000007220: 7E7E413F
	v_mfma_f32_16x16x16_bf16 v[88:91], v[120:121], a[76:77], v[88:91]// 000000007224: D3E10058 15629978
	v_exp_f32_e32 v64, v64                                     // 00000000722C: 7E804140
	v_exp_f32_e32 v65, v65                                     // 000000007230: 7E824141
	v_mfma_f32_16x16x16_bf16 v[88:91], v[122:123], a[78:79], v[88:91]// 000000007234: D3E10058 15629D7A
	v_exp_f32_e32 v66, v66                                     // 00000000723C: 7E844142
	v_exp_f32_e32 v67, v67                                     // 000000007240: 7E864143
	v_mfma_f32_16x16x16_bf16 v[92:95], v[116:117], a[80:81], 0 // 000000007244: D3E1005C 1202A174
	v_exp_f32_e32 v68, v68                                     // 00000000724C: 7E884144
	v_exp_f32_e32 v69, v69                                     // 000000007250: 7E8A4145
	v_mfma_f32_16x16x16_bf16 v[92:95], v[118:119], a[82:83], v[92:95]// 000000007254: D3E1005C 1572A576
	v_exp_f32_e32 v70, v70                                     // 00000000725C: 7E8C4146
	v_exp_f32_e32 v71, v71                                     // 000000007260: 7E8E4147
	v_mfma_f32_16x16x16_bf16 v[92:95], v[120:121], a[84:85], v[92:95]// 000000007264: D3E1005C 1572A978
	v_exp_f32_e32 v72, v72                                     // 00000000726C: 7E904148
	v_exp_f32_e32 v73, v73                                     // 000000007270: 7E924149
	v_mfma_f32_16x16x16_bf16 v[92:95], v[122:123], a[86:87], v[92:95]// 000000007274: D3E1005C 1572AD7A
	v_exp_f32_e32 v74, v74                                     // 00000000727C: 7E94414A
	v_exp_f32_e32 v75, v75                                     // 000000007280: 7E96414B
	v_mfma_f32_16x16x16_bf16 v[96:99], v[116:117], a[88:89], 0 // 000000007284: D3E10060 1202B174
	v_cmp_u_f32_e64 s[78:79], v52, v52                         // 00000000728C: D048004E 00026934
	v_add3_u32 v228, v52, v231, 1                              // 000000007294: D1FF00E4 0207CF34
	v_cndmask_b32_e64 v32, v228, v230, s[78:79]                // 00000000729C: D1000020 013BCDE4
	v_cmp_u_f32_e64 s[78:79], v53, v53                         // 0000000072A4: D048004E 00026B35
	v_add3_u32 v228, v53, v231, 1                              // 0000000072AC: D1FF00E4 0207CF35
	v_cndmask_b32_e64 v33, v228, v230, s[78:79]                // 0000000072B4: D1000021 013BCDE4
	v_perm_b32 v164, v33, v32, s64                             // 0000000072BC: D1ED00A4 01024121
	v_cmp_u_f32_e64 s[78:79], v54, v54                         // 0000000072C4: D048004E 00026D36
	v_add3_u32 v228, v54, v231, 1                              // 0000000072CC: D1FF00E4 0207CF36
	v_cndmask_b32_e64 v32, v228, v230, s[78:79]                // 0000000072D4: D1000020 013BCDE4
	v_cmp_u_f32_e64 s[78:79], v55, v55                         // 0000000072DC: D048004E 00026F37
	v_add3_u32 v228, v55, v231, 1                              // 0000000072E4: D1FF00E4 0207CF37
	v_cndmask_b32_e64 v33, v228, v230, s[78:79]                // 0000000072EC: D1000021 013BCDE4
	v_perm_b32 v165, v33, v32, s64                             // 0000000072F4: D1ED00A5 01024121
	v_cmp_u_f32_e64 s[78:79], v56, v56                         // 0000000072FC: D048004E 00027138
	v_add3_u32 v228, v56, v231, 1                              // 000000007304: D1FF00E4 0207CF38
	v_cndmask_b32_e64 v32, v228, v230, s[78:79]                // 00000000730C: D1000020 013BCDE4
	v_cmp_u_f32_e64 s[78:79], v57, v57                         // 000000007314: D048004E 00027339
	v_add3_u32 v228, v57, v231, 1                              // 00000000731C: D1FF00E4 0207CF39
	v_cndmask_b32_e64 v33, v228, v230, s[78:79]                // 000000007324: D1000021 013BCDE4
	v_perm_b32 v166, v33, v32, s64                             // 00000000732C: D1ED00A6 01024121
	v_cmp_u_f32_e64 s[78:79], v58, v58                         // 000000007334: D048004E 0002753A
	v_add3_u32 v228, v58, v231, 1                              // 00000000733C: D1FF00E4 0207CF3A
	v_cndmask_b32_e64 v32, v228, v230, s[78:79]                // 000000007344: D1000020 013BCDE4
	v_cmp_u_f32_e64 s[78:79], v59, v59                         // 00000000734C: D048004E 0002773B
	v_add3_u32 v228, v59, v231, 1                              // 000000007354: D1FF00E4 0207CF3B
	v_cndmask_b32_e64 v33, v228, v230, s[78:79]                // 00000000735C: D1000021 013BCDE4
	v_perm_b32 v167, v33, v32, s64                             // 000000007364: D1ED00A7 01024121
	v_cmp_u_f32_e64 s[78:79], v60, v60                         // 00000000736C: D048004E 0002793C
	v_add3_u32 v228, v60, v231, 1                              // 000000007374: D1FF00E4 0207CF3C
	v_cndmask_b32_e64 v32, v228, v230, s[78:79]                // 00000000737C: D1000020 013BCDE4
	v_cmp_u_f32_e64 s[78:79], v61, v61                         // 000000007384: D048004E 00027B3D
	v_add3_u32 v228, v61, v231, 1                              // 00000000738C: D1FF00E4 0207CF3D
	v_cndmask_b32_e64 v33, v228, v230, s[78:79]                // 000000007394: D1000021 013BCDE4
	v_perm_b32 v168, v33, v32, s64                             // 00000000739C: D1ED00A8 01024121
	v_cmp_u_f32_e64 s[78:79], v62, v62                         // 0000000073A4: D048004E 00027D3E
	v_add3_u32 v228, v62, v231, 1                              // 0000000073AC: D1FF00E4 0207CF3E
	v_cndmask_b32_e64 v32, v228, v230, s[78:79]                // 0000000073B4: D1000020 013BCDE4
	v_cmp_u_f32_e64 s[78:79], v63, v63                         // 0000000073BC: D048004E 00027F3F
	v_add3_u32 v228, v63, v231, 1                              // 0000000073C4: D1FF00E4 0207CF3F
	v_cndmask_b32_e64 v33, v228, v230, s[78:79]                // 0000000073CC: D1000021 013BCDE4
	v_perm_b32 v169, v33, v32, s64                             // 0000000073D4: D1ED00A9 01024121
	v_mfma_f32_16x16x16_bf16 v[96:99], v[118:119], a[90:91], v[96:99]// 0000000073DC: D3E10060 1582B576
	v_cmp_u_f32_e64 s[78:79], v64, v64                         // 0000000073E4: D048004E 00028140
	v_add3_u32 v228, v64, v231, 1                              // 0000000073EC: D1FF00E4 0207CF40
	v_cndmask_b32_e64 v32, v228, v230, s[78:79]                // 0000000073F4: D1000020 013BCDE4
	v_cmp_u_f32_e64 s[78:79], v65, v65                         // 0000000073FC: D048004E 00028341
	v_add3_u32 v228, v65, v231, 1                              // 000000007404: D1FF00E4 0207CF41
	v_cndmask_b32_e64 v33, v228, v230, s[78:79]                // 00000000740C: D1000021 013BCDE4
	v_perm_b32 v170, v33, v32, s64                             // 000000007414: D1ED00AA 01024121
	v_cmp_u_f32_e64 s[78:79], v66, v66                         // 00000000741C: D048004E 00028542
	v_add3_u32 v228, v66, v231, 1                              // 000000007424: D1FF00E4 0207CF42
	v_cndmask_b32_e64 v32, v228, v230, s[78:79]                // 00000000742C: D1000020 013BCDE4
	v_cmp_u_f32_e64 s[78:79], v67, v67                         // 000000007434: D048004E 00028743
	v_add3_u32 v228, v67, v231, 1                              // 00000000743C: D1FF00E4 0207CF43
	v_cndmask_b32_e64 v33, v228, v230, s[78:79]                // 000000007444: D1000021 013BCDE4
	v_perm_b32 v171, v33, v32, s64                             // 00000000744C: D1ED00AB 01024121
	v_cmp_u_f32_e64 s[78:79], v68, v68                         // 000000007454: D048004E 00028944
	v_add3_u32 v228, v68, v231, 1                              // 00000000745C: D1FF00E4 0207CF44
	v_cndmask_b32_e64 v32, v228, v230, s[78:79]                // 000000007464: D1000020 013BCDE4
	v_cmp_u_f32_e64 s[78:79], v69, v69                         // 00000000746C: D048004E 00028B45
	v_add3_u32 v228, v69, v231, 1                              // 000000007474: D1FF00E4 0207CF45
	v_cndmask_b32_e64 v33, v228, v230, s[78:79]                // 00000000747C: D1000021 013BCDE4
	v_perm_b32 v172, v33, v32, s64                             // 000000007484: D1ED00AC 01024121
	v_cmp_u_f32_e64 s[78:79], v70, v70                         // 00000000748C: D048004E 00028D46
	v_add3_u32 v228, v70, v231, 1                              // 000000007494: D1FF00E4 0207CF46
	v_cndmask_b32_e64 v32, v228, v230, s[78:79]                // 00000000749C: D1000020 013BCDE4
	v_cmp_u_f32_e64 s[78:79], v71, v71                         // 0000000074A4: D048004E 00028F47
	v_add3_u32 v228, v71, v231, 1                              // 0000000074AC: D1FF00E4 0207CF47
	v_cndmask_b32_e64 v33, v228, v230, s[78:79]                // 0000000074B4: D1000021 013BCDE4
	v_perm_b32 v173, v33, v32, s64                             // 0000000074BC: D1ED00AD 01024121
	v_cmp_u_f32_e64 s[78:79], v72, v72                         // 0000000074C4: D048004E 00029148
	v_add3_u32 v228, v72, v231, 1                              // 0000000074CC: D1FF00E4 0207CF48
	v_cndmask_b32_e64 v32, v228, v230, s[78:79]                // 0000000074D4: D1000020 013BCDE4
	v_cmp_u_f32_e64 s[78:79], v73, v73                         // 0000000074DC: D048004E 00029349
	v_add3_u32 v228, v73, v231, 1                              // 0000000074E4: D1FF00E4 0207CF49
	v_cndmask_b32_e64 v33, v228, v230, s[78:79]                // 0000000074EC: D1000021 013BCDE4
	v_perm_b32 v174, v33, v32, s64                             // 0000000074F4: D1ED00AE 01024121
	v_cmp_u_f32_e64 s[78:79], v74, v74                         // 0000000074FC: D048004E 0002954A
	v_add3_u32 v228, v74, v231, 1                              // 000000007504: D1FF00E4 0207CF4A
	v_cndmask_b32_e64 v32, v228, v230, s[78:79]                // 00000000750C: D1000020 013BCDE4
	v_cmp_u_f32_e64 s[78:79], v75, v75                         // 000000007514: D048004E 0002974B
	v_add3_u32 v228, v75, v231, 1                              // 00000000751C: D1FF00E4 0207CF4B
	v_cndmask_b32_e64 v33, v228, v230, s[78:79]                // 000000007524: D1000021 013BCDE4
	v_perm_b32 v175, v33, v32, s64                             // 00000000752C: D1ED00AF 01024121
	v_mfma_f32_16x16x16_bf16 v[96:99], v[120:121], a[92:93], v[96:99]// 000000007534: D3E10060 1582B978
	v_add_u32_e32 v6, s66, v6                                  // 00000000753C: 680C0C42
	v_add_u32_e32 v7, s66, v7                                  // 000000007540: 680E0E42
	v_add_u32_e32 v8, s66, v8                                  // 000000007544: 68101042
	v_add_u32_e32 v9, s66, v9                                  // 000000007548: 68121242
	v_mfma_f32_16x16x16_bf16 v[96:99], v[122:123], a[94:95], v[96:99]// 00000000754C: D3E10060 1582BD7A
	s_waitcnt lgkmcnt(0)                                       // 000000007554: BF8CC07F
	s_barrier                                                  // 000000007558: BF8A0000
	v_mfma_f32_16x16x16_bf16 v[180:183], v[124:125], v[164:165], v[180:183]// 00000000755C: D3E100B4 06D3497C
	v_subrev_f32_dpp v76, v176, v76 quad_perm:[0,0,0,0] row_mask:0xf bank_mask:0xf// 000000007564: 069898FA FF0000B0
	v_subrev_f32_dpp v77, v176, v77 quad_perm:[1,1,1,1] row_mask:0xf bank_mask:0xf// 00000000756C: 069A9AFA FF0055B0
	v_subrev_f32_dpp v78, v176, v78 quad_perm:[2,2,2,2] row_mask:0xf bank_mask:0xf// 000000007574: 069C9CFA FF00AAB0
	v_subrev_f32_dpp v79, v176, v79 quad_perm:[3,3,3,3] row_mask:0xf bank_mask:0xf// 00000000757C: 069E9EFA FF00FFB0
	v_subrev_f32_dpp v80, v176, v80 quad_perm:[0,0,0,0] row_mask:0xf bank_mask:0xf// 000000007584: 06A0A0FA FF0000B0
	v_subrev_f32_dpp v81, v176, v81 quad_perm:[1,1,1,1] row_mask:0xf bank_mask:0xf// 00000000758C: 06A2A2FA FF0055B0
	v_mfma_f32_16x16x16_bf16 v[184:187], v[126:127], v[164:165], v[184:187]// 000000007594: D3E100B8 06E3497E
	v_subrev_f32_dpp v82, v176, v82 quad_perm:[2,2,2,2] row_mask:0xf bank_mask:0xf// 00000000759C: 06A4A4FA FF00AAB0
	v_subrev_f32_dpp v83, v176, v83 quad_perm:[3,3,3,3] row_mask:0xf bank_mask:0xf// 0000000075A4: 06A6A6FA FF00FFB0
	v_subrev_f32_dpp v84, v176, v84 quad_perm:[0,0,0,0] row_mask:0xf bank_mask:0xf// 0000000075AC: 06A8A8FA FF0000B0
	v_subrev_f32_dpp v85, v176, v85 quad_perm:[1,1,1,1] row_mask:0xf bank_mask:0xf// 0000000075B4: 06AAAAFA FF0055B0
	v_subrev_f32_dpp v86, v176, v86 quad_perm:[2,2,2,2] row_mask:0xf bank_mask:0xf// 0000000075BC: 06ACACFA FF00AAB0
	v_subrev_f32_dpp v87, v176, v87 quad_perm:[3,3,3,3] row_mask:0xf bank_mask:0xf// 0000000075C4: 06AEAEFA FF00FFB0
	v_mfma_f32_16x16x16_bf16 v[188:191], v[128:129], v[164:165], v[188:191]// 0000000075CC: D3E100BC 06F34980
	v_mul_f32_e32 v76, v52, v76                                // 0000000075D4: 0A989934
	v_mul_f32_e32 v77, v53, v77                                // 0000000075D8: 0A9A9B35
	v_mul_f32_e32 v78, v54, v78                                // 0000000075DC: 0A9C9D36
	v_mul_f32_e32 v79, v55, v79                                // 0000000075E0: 0A9E9F37
	v_mul_f32_e32 v80, v56, v80                                // 0000000075E4: 0AA0A138
	v_mul_f32_e32 v81, v57, v81                                // 0000000075E8: 0AA2A339
	v_mfma_f32_16x16x16_bf16 v[192:195], v[130:131], v[164:165], v[192:195]// 0000000075EC: D3E100C0 07034982
	v_mul_f32_e32 v82, v58, v82                                // 0000000075F4: 0AA4A53A
	v_mul_f32_e32 v83, v59, v83                                // 0000000075F8: 0AA6A73B
	v_mul_f32_e32 v84, v60, v84                                // 0000000075FC: 0AA8A93C
	v_mul_f32_e32 v85, v61, v85                                // 000000007600: 0AAAAB3D
	v_mul_f32_e32 v86, v62, v86                                // 000000007604: 0AACAD3E
	v_mul_f32_e32 v87, v63, v87                                // 000000007608: 0AAEAF3F
	v_mfma_f32_16x16x16_bf16 v[196:199], v[124:125], v[166:167], v[196:199]// 00000000760C: D3E100C4 07134D7C
	v_cmp_u_f32_e64 s[78:79], v76, v76                         // 000000007614: D048004E 0002994C
	v_add3_u32 v228, v76, v231, 1                              // 00000000761C: D1FF00E4 0207CF4C
	v_cndmask_b32_e64 v32, v228, v230, s[78:79]                // 000000007624: D1000020 013BCDE4
	v_cmp_u_f32_e64 s[78:79], v77, v77                         // 00000000762C: D048004E 00029B4D
	v_add3_u32 v228, v77, v231, 1                              // 000000007634: D1FF00E4 0207CF4D
	v_cndmask_b32_e64 v33, v228, v230, s[78:79]                // 00000000763C: D1000021 013BCDE4
	v_perm_b32 v76, v33, v32, s64                              // 000000007644: D1ED004C 01024121
	v_cmp_u_f32_e64 s[78:79], v78, v78                         // 00000000764C: D048004E 00029D4E
	v_add3_u32 v228, v78, v231, 1                              // 000000007654: D1FF00E4 0207CF4E
	v_cndmask_b32_e64 v32, v228, v230, s[78:79]                // 00000000765C: D1000020 013BCDE4
	v_cmp_u_f32_e64 s[78:79], v79, v79                         // 000000007664: D048004E 00029F4F
	v_add3_u32 v228, v79, v231, 1                              // 00000000766C: D1FF00E4 0207CF4F
	v_cndmask_b32_e64 v33, v228, v230, s[78:79]                // 000000007674: D1000021 013BCDE4
	v_perm_b32 v77, v33, v32, s64                              // 00000000767C: D1ED004D 01024121
	v_cmp_u_f32_e64 s[78:79], v80, v80                         // 000000007684: D048004E 0002A150
	v_add3_u32 v228, v80, v231, 1                              // 00000000768C: D1FF00E4 0207CF50
	v_cndmask_b32_e64 v32, v228, v230, s[78:79]                // 000000007694: D1000020 013BCDE4
	v_cmp_u_f32_e64 s[78:79], v81, v81                         // 00000000769C: D048004E 0002A351
	v_add3_u32 v228, v81, v231, 1                              // 0000000076A4: D1FF00E4 0207CF51
	v_cndmask_b32_e64 v33, v228, v230, s[78:79]                // 0000000076AC: D1000021 013BCDE4
	v_perm_b32 v78, v33, v32, s64                              // 0000000076B4: D1ED004E 01024121
	v_cmp_u_f32_e64 s[78:79], v82, v82                         // 0000000076BC: D048004E 0002A552
	v_add3_u32 v228, v82, v231, 1                              // 0000000076C4: D1FF00E4 0207CF52
	v_cndmask_b32_e64 v32, v228, v230, s[78:79]                // 0000000076CC: D1000020 013BCDE4
	v_cmp_u_f32_e64 s[78:79], v83, v83                         // 0000000076D4: D048004E 0002A753
	v_add3_u32 v228, v83, v231, 1                              // 0000000076DC: D1FF00E4 0207CF53
	v_cndmask_b32_e64 v33, v228, v230, s[78:79]                // 0000000076E4: D1000021 013BCDE4
	v_perm_b32 v79, v33, v32, s64                              // 0000000076EC: D1ED004F 01024121
	v_cmp_u_f32_e64 s[78:79], v84, v84                         // 0000000076F4: D048004E 0002A954
	v_add3_u32 v228, v84, v231, 1                              // 0000000076FC: D1FF00E4 0207CF54
	v_cndmask_b32_e64 v32, v228, v230, s[78:79]                // 000000007704: D1000020 013BCDE4
	v_cmp_u_f32_e64 s[78:79], v85, v85                         // 00000000770C: D048004E 0002AB55
	v_add3_u32 v228, v85, v231, 1                              // 000000007714: D1FF00E4 0207CF55
	v_cndmask_b32_e64 v33, v228, v230, s[78:79]                // 00000000771C: D1000021 013BCDE4
	v_perm_b32 v80, v33, v32, s64                              // 000000007724: D1ED0050 01024121
	v_cmp_u_f32_e64 s[78:79], v86, v86                         // 00000000772C: D048004E 0002AD56
	v_add3_u32 v228, v86, v231, 1                              // 000000007734: D1FF00E4 0207CF56
	v_cndmask_b32_e64 v32, v228, v230, s[78:79]                // 00000000773C: D1000020 013BCDE4
	v_cmp_u_f32_e64 s[78:79], v87, v87                         // 000000007744: D048004E 0002AF57
	v_add3_u32 v228, v87, v231, 1                              // 00000000774C: D1FF00E4 0207CF57
	v_cndmask_b32_e64 v33, v228, v230, s[78:79]                // 000000007754: D1000021 013BCDE4
	v_perm_b32 v81, v33, v32, s64                              // 00000000775C: D1ED0051 01024121
	v_mfma_f32_16x16x16_bf16 v[200:203], v[126:127], v[166:167], v[200:203]// 000000007764: D3E100C8 07234D7E
	v_mov_b32_dpp v18, v76 quad_perm:[1,0,3,2] row_mask:0xf bank_mask:0xf// 00000000776C: 7E2402FA FF00B14C
	v_perm_b32 v52, v18, v76, v17                              // 000000007774: D1ED0034 04469912
	v_mov_b32_dpp v18, v77 quad_perm:[1,0,3,2] row_mask:0xf bank_mask:0xf// 00000000777C: 7E2402FA FF00B14D
	v_perm_b32 v53, v18, v77, v17                              // 000000007784: D1ED0035 04469B12
	v_mov_b32_dpp v18, v78 quad_perm:[1,0,3,2] row_mask:0xf bank_mask:0xf// 00000000778C: 7E2402FA FF00B14E
	v_perm_b32 v54, v18, v78, v17                              // 000000007794: D1ED0036 04469D12
	v_mfma_f32_16x16x16_bf16 v[204:207], v[128:129], v[166:167], v[204:207]// 00000000779C: D3E100CC 07334D80
	v_mov_b32_dpp v18, v79 quad_perm:[1,0,3,2] row_mask:0xf bank_mask:0xf// 0000000077A4: 7E2402FA FF00B14F
	v_perm_b32 v55, v18, v79, v17                              // 0000000077AC: D1ED0037 04469F12
	v_mov_b32_dpp v18, v80 quad_perm:[1,0,3,2] row_mask:0xf bank_mask:0xf// 0000000077B4: 7E2402FA FF00B150
	v_perm_b32 v56, v18, v80, v17                              // 0000000077BC: D1ED0038 0446A112
	v_mov_b32_dpp v18, v81 quad_perm:[1,0,3,2] row_mask:0xf bank_mask:0xf// 0000000077C4: 7E2402FA FF00B151
	v_perm_b32 v57, v18, v81, v17                              // 0000000077CC: D1ED0039 0446A312
	v_mfma_f32_16x16x16_bf16 v[208:211], v[130:131], v[166:167], v[208:211]// 0000000077D4: D3E100D0 07434D82
	ds_write_b32 v20, v52 offset:17408                         // 0000000077DC: D81A4400 00003414
	ds_write_b32 v20, v53 offset:17952                         // 0000000077E4: D81A4620 00003514
	v_mfma_f32_16x16x16_bf16 v[212:215], v[124:125], v[168:169], v[212:215]// 0000000077EC: D3E100D4 0753517C
	v_subrev_f32_dpp v88, v177, v88 quad_perm:[0,0,0,0] row_mask:0xf bank_mask:0xf// 0000000077F4: 06B0B0FA FF0000B1
	v_subrev_f32_dpp v89, v177, v89 quad_perm:[1,1,1,1] row_mask:0xf bank_mask:0xf// 0000000077FC: 06B2B2FA FF0055B1
	v_subrev_f32_dpp v90, v177, v90 quad_perm:[2,2,2,2] row_mask:0xf bank_mask:0xf// 000000007804: 06B4B4FA FF00AAB1
	v_subrev_f32_dpp v91, v177, v91 quad_perm:[3,3,3,3] row_mask:0xf bank_mask:0xf// 00000000780C: 06B6B6FA FF00FFB1
	v_subrev_f32_dpp v92, v177, v92 quad_perm:[0,0,0,0] row_mask:0xf bank_mask:0xf// 000000007814: 06B8B8FA FF0000B1
	v_subrev_f32_dpp v93, v177, v93 quad_perm:[1,1,1,1] row_mask:0xf bank_mask:0xf// 00000000781C: 06BABAFA FF0055B1
	v_mfma_f32_16x16x16_bf16 v[216:219], v[126:127], v[168:169], v[216:219]// 000000007824: D3E100D8 0763517E
	ds_write_b32 v20, v54 offset:19712                         // 00000000782C: D81A4D00 00003614
	ds_write_b32 v20, v55 offset:20256                         // 000000007834: D81A4F20 00003714
	v_mfma_f32_16x16x16_bf16 v[220:223], v[128:129], v[168:169], v[220:223]// 00000000783C: D3E100DC 07735180
	v_subrev_f32_dpp v94, v177, v94 quad_perm:[2,2,2,2] row_mask:0xf bank_mask:0xf// 000000007844: 06BCBCFA FF00AAB1
	v_subrev_f32_dpp v95, v177, v95 quad_perm:[3,3,3,3] row_mask:0xf bank_mask:0xf// 00000000784C: 06BEBEFA FF00FFB1
	v_subrev_f32_dpp v96, v177, v96 quad_perm:[0,0,0,0] row_mask:0xf bank_mask:0xf// 000000007854: 06C0C0FA FF0000B1
	v_subrev_f32_dpp v97, v177, v97 quad_perm:[1,1,1,1] row_mask:0xf bank_mask:0xf// 00000000785C: 06C2C2FA FF0055B1
	v_subrev_f32_dpp v98, v177, v98 quad_perm:[2,2,2,2] row_mask:0xf bank_mask:0xf// 000000007864: 06C4C4FA FF00AAB1
	v_subrev_f32_dpp v99, v177, v99 quad_perm:[3,3,3,3] row_mask:0xf bank_mask:0xf// 00000000786C: 06C6C6FA FF00FFB1
	v_mfma_f32_16x16x16_bf16 v[224:227], v[130:131], v[168:169], v[224:227]// 000000007874: D3E100E0 07835182
	ds_write_b32 v20, v56 offset:22016                         // 00000000787C: D81A5600 00003814
	ds_write_b32 v20, v57 offset:22560                         // 000000007884: D81A5820 00003914
	v_mfma_f32_16x16x16_bf16 v[180:183], v[132:133], v[170:171], v[180:183]// 00000000788C: D3E100B4 06D35584
	v_mul_f32_e32 v88, v64, v88                                // 000000007894: 0AB0B140
	v_mul_f32_e32 v89, v65, v89                                // 000000007898: 0AB2B341
	v_mul_f32_e32 v90, v66, v90                                // 00000000789C: 0AB4B542
	v_mul_f32_e32 v91, v67, v91                                // 0000000078A0: 0AB6B743
	v_mul_f32_e32 v92, v68, v92                                // 0000000078A4: 0AB8B944
	v_mul_f32_e32 v93, v69, v93                                // 0000000078A8: 0ABABB45
	v_mfma_f32_16x16x16_bf16 v[184:187], v[134:135], v[170:171], v[184:187]// 0000000078AC: D3E100B8 06E35586
	v_mul_f32_e32 v94, v70, v94                                // 0000000078B4: 0ABCBD46
	v_mul_f32_e32 v95, v71, v95                                // 0000000078B8: 0ABEBF47
	v_mul_f32_e32 v96, v72, v96                                // 0000000078BC: 0AC0C148
	v_mul_f32_e32 v97, v73, v97                                // 0000000078C0: 0AC2C349
	v_mul_f32_e32 v98, v74, v98                                // 0000000078C4: 0AC4C54A
	v_mul_f32_e32 v99, v75, v99                                // 0000000078C8: 0AC6C74B
	v_mfma_f32_16x16x16_bf16 v[188:191], v[136:137], v[170:171], v[188:191]// 0000000078CC: D3E100BC 06F35588
	v_cmp_u_f32_e64 s[78:79], v88, v88                         // 0000000078D4: D048004E 0002B158
	v_add3_u32 v228, v88, v231, 1                              // 0000000078DC: D1FF00E4 0207CF58
	v_cndmask_b32_e64 v32, v228, v230, s[78:79]                // 0000000078E4: D1000020 013BCDE4
	v_cmp_u_f32_e64 s[78:79], v89, v89                         // 0000000078EC: D048004E 0002B359
	v_add3_u32 v228, v89, v231, 1                              // 0000000078F4: D1FF00E4 0207CF59
	v_cndmask_b32_e64 v33, v228, v230, s[78:79]                // 0000000078FC: D1000021 013BCDE4
	v_perm_b32 v82, v33, v32, s64                              // 000000007904: D1ED0052 01024121
	v_cmp_u_f32_e64 s[78:79], v90, v90                         // 00000000790C: D048004E 0002B55A
	v_add3_u32 v228, v90, v231, 1                              // 000000007914: D1FF00E4 0207CF5A
	v_cndmask_b32_e64 v32, v228, v230, s[78:79]                // 00000000791C: D1000020 013BCDE4
	v_cmp_u_f32_e64 s[78:79], v91, v91                         // 000000007924: D048004E 0002B75B
	v_add3_u32 v228, v91, v231, 1                              // 00000000792C: D1FF00E4 0207CF5B
	v_cndmask_b32_e64 v33, v228, v230, s[78:79]                // 000000007934: D1000021 013BCDE4
	v_perm_b32 v83, v33, v32, s64                              // 00000000793C: D1ED0053 01024121
	v_cmp_u_f32_e64 s[78:79], v92, v92                         // 000000007944: D048004E 0002B95C
	v_add3_u32 v228, v92, v231, 1                              // 00000000794C: D1FF00E4 0207CF5C
	v_cndmask_b32_e64 v32, v228, v230, s[78:79]                // 000000007954: D1000020 013BCDE4
	v_cmp_u_f32_e64 s[78:79], v93, v93                         // 00000000795C: D048004E 0002BB5D
	v_add3_u32 v228, v93, v231, 1                              // 000000007964: D1FF00E4 0207CF5D
	v_cndmask_b32_e64 v33, v228, v230, s[78:79]                // 00000000796C: D1000021 013BCDE4
	v_perm_b32 v84, v33, v32, s64                              // 000000007974: D1ED0054 01024121
	v_cmp_u_f32_e64 s[78:79], v94, v94                         // 00000000797C: D048004E 0002BD5E
	v_add3_u32 v228, v94, v231, 1                              // 000000007984: D1FF00E4 0207CF5E
	v_cndmask_b32_e64 v32, v228, v230, s[78:79]                // 00000000798C: D1000020 013BCDE4
	v_cmp_u_f32_e64 s[78:79], v95, v95                         // 000000007994: D048004E 0002BF5F
	v_add3_u32 v228, v95, v231, 1                              // 00000000799C: D1FF00E4 0207CF5F
	v_cndmask_b32_e64 v33, v228, v230, s[78:79]                // 0000000079A4: D1000021 013BCDE4
	v_perm_b32 v85, v33, v32, s64                              // 0000000079AC: D1ED0055 01024121
	v_cmp_u_f32_e64 s[78:79], v96, v96                         // 0000000079B4: D048004E 0002C160
	v_add3_u32 v228, v96, v231, 1                              // 0000000079BC: D1FF00E4 0207CF60
	v_cndmask_b32_e64 v32, v228, v230, s[78:79]                // 0000000079C4: D1000020 013BCDE4
	v_cmp_u_f32_e64 s[78:79], v97, v97                         // 0000000079CC: D048004E 0002C361
	v_add3_u32 v228, v97, v231, 1                              // 0000000079D4: D1FF00E4 0207CF61
	v_cndmask_b32_e64 v33, v228, v230, s[78:79]                // 0000000079DC: D1000021 013BCDE4
	v_perm_b32 v86, v33, v32, s64                              // 0000000079E4: D1ED0056 01024121
	v_cmp_u_f32_e64 s[78:79], v98, v98                         // 0000000079EC: D048004E 0002C562
	v_add3_u32 v228, v98, v231, 1                              // 0000000079F4: D1FF00E4 0207CF62
	v_cndmask_b32_e64 v32, v228, v230, s[78:79]                // 0000000079FC: D1000020 013BCDE4
	v_cmp_u_f32_e64 s[78:79], v99, v99                         // 000000007A04: D048004E 0002C763
	v_add3_u32 v228, v99, v231, 1                              // 000000007A0C: D1FF00E4 0207CF63
	v_cndmask_b32_e64 v33, v228, v230, s[78:79]                // 000000007A14: D1000021 013BCDE4
	v_perm_b32 v87, v33, v32, s64                              // 000000007A1C: D1ED0057 01024121
	v_mfma_f32_16x16x16_bf16 v[192:195], v[138:139], v[170:171], v[192:195]// 000000007A24: D3E100C0 0703558A
	v_mov_b32_dpp v18, v82 quad_perm:[1,0,3,2] row_mask:0xf bank_mask:0xf// 000000007A2C: 7E2402FA FF00B152
	v_perm_b32 v58, v18, v82, v17                              // 000000007A34: D1ED003A 0446A512
	v_mov_b32_dpp v18, v83 quad_perm:[1,0,3,2] row_mask:0xf bank_mask:0xf// 000000007A3C: 7E2402FA FF00B153
	v_perm_b32 v59, v18, v83, v17                              // 000000007A44: D1ED003B 0446A712
	v_mov_b32_dpp v18, v84 quad_perm:[1,0,3,2] row_mask:0xf bank_mask:0xf// 000000007A4C: 7E2402FA FF00B154
	v_perm_b32 v60, v18, v84, v17                              // 000000007A54: D1ED003C 0446A912
	v_mfma_f32_16x16x16_bf16 v[196:199], v[132:133], v[172:173], v[196:199]// 000000007A5C: D3E100C4 07135984
	v_mov_b32_dpp v18, v85 quad_perm:[1,0,3,2] row_mask:0xf bank_mask:0xf// 000000007A64: 7E2402FA FF00B155
	v_perm_b32 v61, v18, v85, v17                              // 000000007A6C: D1ED003D 0446AB12
	v_mov_b32_dpp v18, v86 quad_perm:[1,0,3,2] row_mask:0xf bank_mask:0xf// 000000007A74: 7E2402FA FF00B156
	v_perm_b32 v62, v18, v86, v17                              // 000000007A7C: D1ED003E 0446AD12
	v_mov_b32_dpp v18, v87 quad_perm:[1,0,3,2] row_mask:0xf bank_mask:0xf// 000000007A84: 7E2402FA FF00B157
	v_perm_b32 v63, v18, v87, v17                              // 000000007A8C: D1ED003F 0446AF12
	v_mfma_f32_16x16x16_bf16 v[200:203], v[134:135], v[172:173], v[200:203]// 000000007A94: D3E100C8 07235986
	ds_write_b32 v20, v58 offset:24320                         // 000000007A9C: D81A5F00 00003A14
	ds_write_b32 v20, v59 offset:24864                         // 000000007AA4: D81A6120 00003B14
	v_mfma_f32_16x16x16_bf16 v[204:207], v[136:137], v[172:173], v[204:207]// 000000007AAC: D3E100CC 07335988
	v_mfma_f32_16x16x16_bf16 v[208:211], v[138:139], v[172:173], v[208:211]// 000000007AB4: D3E100D0 0743598A
	ds_write_b32 v20, v60 offset:26624                         // 000000007ABC: D81A6800 00003C14
	ds_write_b32 v20, v61 offset:27168                         // 000000007AC4: D81A6A20 00003D14
	ds_write_b32 v20, v62 offset:28928                         // 000000007ACC: D81A7100 00003E14
	ds_write_b32 v20, v63 offset:29472                         // 000000007AD4: D81A7320 00003F14
	v_mfma_f32_16x16x16_bf16 v[212:215], v[132:133], v[174:175], v[212:215]// 000000007ADC: D3E100D4 07535D84
	v_mfma_f32_16x16x16_bf16 v[216:219], v[134:135], v[174:175], v[216:219]// 000000007AE4: D3E100D8 07635D86
	ds_write_b32 v15, v100 offset:4352                         // 000000007AEC: D81A1100 0000640F
	ds_write_b32 v15, v101 offset:5408                         // 000000007AF4: D81A1520 0000650F
	v_mfma_f32_16x16x16_bf16 v[220:223], v[136:137], v[174:175], v[220:223]// 000000007AFC: D3E100DC 07735D88
	s_nop 0                                                    // 000000007B04: BF800000
	s_nop 0                                                    // 000000007B08: BF800000
	s_nop 0                                                    // 000000007B0C: BF800000
	v_mfma_f32_16x16x16_bf16 v[224:227], v[138:139], v[174:175], v[224:227]// 000000007B10: D3E100E0 07835D8A
	ds_write_b32 v15, v102 offset:6528                         // 000000007B18: D81A1980 0000660F
	ds_write_b32 v15, v103 offset:7584                         // 000000007B20: D81A1DA0 0000670F
	s_barrier                                                  // 000000007B28: BF8A0000
	v_mfma_f32_16x16x16_bf16 a[112:115], a[96:97], v[76:77], a[112:115]// 000000007B2C: D3E18070 0DC29960
	buffer_atomic_add_f32 v156, v6, s[32:35], 0 idxen          // 000000007B34: E1342000 80089C06
	v_mfma_f32_16x16x16_bf16 a[116:119], a[98:99], v[76:77], a[116:119]// 000000007B3C: D3E18074 0DD29962
	ds_read_b32 v140, v23 offset:39424                         // 000000007B44: D86C9A00 8C000017
	ds_read_b32 v144, v23 offset:39488                         // 000000007B4C: D86C9A40 90000017
	ds_read_b32 v176, v23 offset:39680                         // 000000007B54: D86C9B00 B0000017
	ds_read_b32 v177, v23 offset:39744                         // 000000007B5C: D86C9B40 B1000017
	v_mfma_f32_16x16x16_bf16 a[120:123], a[100:101], v[76:77], a[120:123]// 000000007B64: D3E18078 0DE29964
	s_waitcnt lgkmcnt(8)                                       // 000000007B6C: BF8CC87F
	s_barrier                                                  // 000000007B70: BF8A0000
	v_mfma_f32_16x16x16_bf16 a[124:127], a[102:103], v[76:77], a[124:127]// 000000007B74: D3E1807C 0DF29966
	ds_read_b128 v[52:55], v19 offset:17408                    // 000000007B7C: D9FE4400 34000013
	v_mfma_f32_16x16x16_bf16 a[128:131], a[96:97], v[78:79], a[128:131]// 000000007B84: D3E18080 0E029D60
	v_mfma_f32_16x16x16_bf16 a[132:135], a[98:99], v[78:79], a[132:135]// 000000007B8C: D3E18084 0E129D62
	ds_read_b128 v[56:59], v19 offset:18560                    // 000000007B94: D9FE4880 38000013
	v_mfma_f32_16x16x16_bf16 a[136:139], a[100:101], v[78:79], a[136:139]// 000000007B9C: D3E18088 0E229D64
	buffer_atomic_add_f32 v157, v7, s[32:35], 0 idxen          // 000000007BA4: E1342000 80089D07
	v_mfma_f32_16x16x16_bf16 a[140:143], a[102:103], v[78:79], a[140:143]// 000000007BAC: D3E1808C 0E329D66
	ds_read_b128 v[60:63], v19 offset:19712                    // 000000007BB4: D9FE4D00 3C000013
	v_mfma_f32_16x16x16_bf16 a[144:147], a[96:97], v[80:81], a[144:147]// 000000007BBC: D3E18090 0E42A160
	v_mfma_f32_16x16x16_bf16 a[148:151], a[98:99], v[80:81], a[148:151]// 000000007BC4: D3E18094 0E52A162
	ds_read_b128 v[64:67], v19 offset:20864                    // 000000007BCC: D9FE5180 40000013
	v_mfma_f32_16x16x16_bf16 a[152:155], a[100:101], v[80:81], a[152:155]// 000000007BD4: D3E18098 0E62A164
	v_mfma_f32_16x16x16_bf16 a[156:159], a[102:103], v[80:81], a[156:159]// 000000007BDC: D3E1809C 0E72A166
	ds_read_b128 v[68:71], v19 offset:22016                    // 000000007BE4: D9FE5600 44000013
	v_mfma_f32_16x16x16_bf16 a[112:115], a[104:105], v[82:83], a[112:115]// 000000007BEC: D3E18070 0DC2A568
	buffer_atomic_add_f32 v158, v6, s[32:35], 0 idxen offset:128// 000000007BF4: E1342080 80089E06
	v_mfma_f32_16x16x16_bf16 a[116:119], a[106:107], v[82:83], a[116:119]// 000000007BFC: D3E18074 0DD2A56A
	ds_read_b128 v[72:75], v19 offset:23168                    // 000000007C04: D9FE5A80 48000013
	v_mfma_f32_16x16x16_bf16 a[120:123], a[108:109], v[82:83], a[120:123]// 000000007C0C: D3E18078 0DE2A56C
	v_mfma_f32_16x16x16_bf16 a[124:127], a[110:111], v[82:83], a[124:127]// 000000007C14: D3E1807C 0DF2A56E
	ds_write_b32 v15, v104 offset:13056                        // 000000007C1C: D81A3300 0000680F
	v_mfma_f32_16x16x16_bf16 a[128:131], a[104:105], v[84:85], a[128:131]// 000000007C24: D3E18080 0E02A968
	v_mfma_f32_16x16x16_bf16 a[132:135], a[106:107], v[84:85], a[132:135]// 000000007C2C: D3E18084 0E12A96A
	ds_write_b32 v15, v105 offset:14112                        // 000000007C34: D81A3720 0000690F
	v_mfma_f32_16x16x16_bf16 a[136:139], a[108:109], v[84:85], a[136:139]// 000000007C3C: D3E18088 0E22A96C
	buffer_atomic_add_f32 v159, v7, s[32:35], 0 idxen offset:128// 000000007C44: E1342080 80089F07
	v_mfma_f32_16x16x16_bf16 a[140:143], a[110:111], v[84:85], a[140:143]// 000000007C4C: D3E1808C 0E32A96E
	ds_write_b32 v15, v106 offset:15232                        // 000000007C54: D81A3B80 00006A0F
	v_mfma_f32_16x16x16_bf16 a[144:147], a[104:105], v[86:87], a[144:147]// 000000007C5C: D3E18090 0E42AD68
	v_mfma_f32_16x16x16_bf16 a[148:151], a[106:107], v[86:87], a[148:151]// 000000007C64: D3E18094 0E52AD6A
	ds_write_b32 v15, v107 offset:16288                        // 000000007C6C: D81A3FA0 00006B0F
	v_mfma_f32_16x16x16_bf16 a[152:155], a[108:109], v[86:87], a[152:155]// 000000007C74: D3E18098 0E62AD6C
	v_mfma_f32_16x16x16_bf16 a[156:159], a[110:111], v[86:87], a[156:159]// 000000007C7C: D3E1809C 0E72AD6E
	s_waitcnt vmcnt(8) lgkmcnt(4)                              // 000000007C84: BF8C0478
	s_barrier                                                  // 000000007C88: BF8A0000
	v_mfma_f32_16x16x16_bf16 v[148:151], v[52:53], a[24:25], 0 // 000000007C8C: D3E10094 12023134
	v_mul_f32_e32 v140, s48, v140                              // 000000007C94: 0B191830
	v_mul_f32_e32 v144, s48, v144                              // 000000007C98: 0B212030
	s_nop 0                                                    // 000000007C9C: BF800000
	v_mfma_f32_16x16x16_bf16 v[148:151], v[54:55], a[28:29], v[148:151]// 000000007CA0: D3E10094 16523936
	ds_read_b128 a[96:99], v12                                 // 000000007CA8: DBFE0000 6000000C
	buffer_load_dword v36, v1, s[8:11], 0 idxen                // 000000007CB0: E0502000 80022401
	v_mfma_f32_16x16x16_bf16 v[148:151], v[56:57], a[32:33], v[148:151]// 000000007CB8: D3E10094 16524138
	v_mfma_f32_16x16x16_bf16 v[148:151], v[58:59], a[36:37], v[148:151]// 000000007CC0: D3E10094 1652493A
	ds_read_b128 a[100:103], v12 offset:512                    // 000000007CC8: DBFE0200 6400000C
	buffer_load_dword v37, v2, s[8:11], 0 idxen                // 000000007CD0: E0502000 80022502
	v_mfma_f32_16x16x16_bf16 v[148:151], v[60:61], a[40:41], v[148:151]// 000000007CD8: D3E10094 1652513C
	v_perm_b32 v100, v41, v40, s63                             // 000000007CE0: D1ED0064 00FE5129
	v_perm_b32 v101, v41, v40, s64                             // 000000007CE8: D1ED0065 01025129
	v_mfma_f32_16x16x16_bf16 v[148:151], v[62:63], a[44:45], v[148:151]// 000000007CF0: D3E10094 1652593E
	ds_read_b128 a[104:107], v12 offset:2176                   // 000000007CF8: DBFE0880 6800000C
	buffer_load_dword v38, v3, s[8:11], 0 idxen                // 000000007D00: E0502000 80022603
	v_mfma_f32_16x16x16_bf16 v[148:151], v[64:65], a[48:49], v[148:151]// 000000007D08: D3E10094 16526140
	v_perm_b32 v102, v43, v42, s63                             // 000000007D10: D1ED0066 00FE552B
	v_perm_b32 v103, v43, v42, s64                             // 000000007D18: D1ED0067 0102552B
	v_mfma_f32_16x16x16_bf16 v[148:151], v[66:67], a[52:53], v[148:151]// 000000007D20: D3E10094 16526942
	ds_read_b128 a[108:111], v12 offset:2688                   // 000000007D28: DBFE0A80 6C00000C
	buffer_load_dword v39, v4, s[8:11], 0 idxen                // 000000007D30: E0502000 80022704
	v_mfma_f32_16x16x16_bf16 v[148:151], v[68:69], a[56:57], v[148:151]// 000000007D38: D3E10094 16527144
	v_perm_b32 v104, v49, v48, s63                             // 000000007D40: D1ED0068 00FE6131
	v_perm_b32 v105, v49, v48, s64                             // 000000007D48: D1ED0069 01026131
	v_mfma_f32_16x16x16_bf16 v[148:151], v[70:71], a[60:61], v[148:151]// 000000007D50: D3E10094 16527946
	ds_read_b128 v[108:111], v12 offset:8704                   // 000000007D58: D9FE2200 6C00000C
	buffer_load_dword v44, v232, s[20:23], 0 idxen             // 000000007D60: E0502000 80052CE8
	v_mfma_f32_16x16x16_bf16 v[148:151], v[72:73], a[64:65], v[148:151]// 000000007D68: D3E10094 16528148
	v_perm_b32 v106, v51, v50, s63                             // 000000007D70: D1ED006A 00FE6533
	v_perm_b32 v107, v51, v50, s64                             // 000000007D78: D1ED006B 01026533
	v_mfma_f32_16x16x16_bf16 v[148:151], v[74:75], a[68:69], v[148:151]// 000000007D80: D3E10094 1652894A
	ds_read_b128 v[112:115], v12 offset:9216                   // 000000007D88: D9FE2400 7000000C
	buffer_load_dword v45, v233, s[20:23], 0 idxen             // 000000007D90: E0502000 80052DE9
	v_mfma_f32_16x16x16_bf16 v[152:155], v[52:53], a[26:27], 0 // 000000007D98: D3E10098 12023534
	v_mov_b32_dpp v143, v140 quad_perm:[3,3,3,3] row_mask:0xf bank_mask:0xf// 000000007DA0: 7F1E02FA FF00FF8C
	v_mov_b32_dpp v142, v140 quad_perm:[2,2,2,2] row_mask:0xf bank_mask:0xf// 000000007DA8: 7F1C02FA FF00AA8C
	v_mov_b32_dpp v141, v140 quad_perm:[1,1,1,1] row_mask:0xf bank_mask:0xf// 000000007DB0: 7F1A02FA FF00558C
	v_mov_b32_dpp v140, v140 quad_perm:[0,0,0,0] row_mask:0xf bank_mask:0xf// 000000007DB8: 7F1802FA FF00008C
	v_mfma_f32_16x16x16_bf16 v[152:155], v[54:55], a[30:31], v[152:155]// 000000007DC0: D3E10098 16623D36
	ds_read_b128 v[116:119], v12 offset:10880                  // 000000007DC8: D9FE2A80 7400000C
	buffer_load_dword v46, v234, s[20:23], 0 idxen             // 000000007DD0: E0502000 80052EEA
	v_mfma_f32_16x16x16_bf16 v[152:155], v[56:57], a[34:35], v[152:155]// 000000007DD8: D3E10098 16624538
	v_mov_b32_dpp v147, v144 quad_perm:[3,3,3,3] row_mask:0xf bank_mask:0xf// 000000007DE0: 7F2602FA FF00FF90
	v_mov_b32_dpp v146, v144 quad_perm:[2,2,2,2] row_mask:0xf bank_mask:0xf// 000000007DE8: 7F2402FA FF00AA90
	v_mov_b32_dpp v145, v144 quad_perm:[1,1,1,1] row_mask:0xf bank_mask:0xf// 000000007DF0: 7F2202FA FF005590
	v_mov_b32_dpp v144, v144 quad_perm:[0,0,0,0] row_mask:0xf bank_mask:0xf// 000000007DF8: 7F2002FA FF000090
	s_add_u32 s60, 0x80, s59                                   // 000000007E00: 803C3BFF 00000080
	v_mfma_f32_16x16x16_bf16 v[152:155], v[58:59], a[38:39], v[152:155]// 000000007E08: D3E10098 16624D3A
	ds_read_b128 v[120:123], v12 offset:11392                  // 000000007E10: D9FE2C80 7800000C
	buffer_load_dword v47, v235, s[20:23], 0 idxen             // 000000007E18: E0502000 80052FEB
	v_mfma_f32_16x16x16_bf16 v[152:155], v[60:61], a[42:43], v[152:155]// 000000007E20: D3E10098 1662553C
	s_cmp_lt_u32 s60, s58                                      // 000000007E28: BF0A3A3C
	s_cselect_b32 s68, s68, 0                                  // 000000007E2C: 85448044
	s_cselect_b32 s99, s99, 0                                  // 000000007E30: 85638063
	s_cselect_b32 s69, s69, 0                                  // 000000007E34: 85458045
	v_mfma_f32_16x16x16_bf16 v[152:155], v[62:63], a[46:47], v[152:155]// 000000007E38: D3E10098 16625D3E
	buffer_load_dword v11, s[24:27], 0 idxen lds               // 000000007E40: E0512000 8006000B
	v_mfma_f32_16x16x16_bf16 v[152:155], v[64:65], a[50:51], v[152:155]// 000000007E48: D3E10098 16626540
	v_add_u32_e32 v1, s68, v1                                  // 000000007E50: 68020244
	v_add_u32_e32 v2, s68, v2                                  // 000000007E54: 68040444
	v_add_u32_e32 v3, s68, v3                                  // 000000007E58: 68060644
	v_add_u32_e32 v4, s68, v4                                  // 000000007E5C: 68080844
	v_mfma_f32_16x16x16_bf16 v[152:155], v[66:67], a[54:55], v[152:155]// 000000007E60: D3E10098 16626D42
	v_add_u32_e32 v232, s99, v232                              // 000000007E68: 69D1D063
	v_add_u32_e32 v233, s99, v233                              // 000000007E6C: 69D3D263
	v_add_u32_e32 v234, s99, v234                              // 000000007E70: 69D5D463
	v_add_u32_e32 v235, s99, v235                              // 000000007E74: 69D7D663
	v_mfma_f32_16x16x16_bf16 v[152:155], v[68:69], a[58:59], v[152:155]// 000000007E78: D3E10098 16627544
	s_mov_b32 m0, s81                                          // 000000007E80: BEFC0051
	v_add_u32_e32 v11, s69, v11                                // 000000007E84: 68161645
	v_mfma_f32_16x16x16_bf16 v[152:155], v[70:71], a[62:63], v[152:155]// 000000007E88: D3E10098 16627D46
	s_cmp_ge_u32 s59, s73                                      // 000000007E90: BF09493B
	s_cselect_b32 s66, s67, s66                                // 000000007E94: 85424243
	v_mfma_f32_16x16x16_bf16 v[152:155], v[72:73], a[66:67], v[152:155]// 000000007E98: D3E10098 16628548
	s_addk_i32 s59, 0x20                                       // 000000007EA0: B73B0020
	s_nop 0                                                    // 000000007EA4: BF800000
	s_cmp_lt_i32 s59, s58                                      // 000000007EA8: BF043A3B
	v_mfma_f32_16x16x16_bf16 v[152:155], v[74:75], a[70:71], v[152:155]// 000000007EAC: D3E10098 16628D4A
	s_cbranch_scc0 label_1041                                  // 000000007EB4: BF840001
	s_branch label_0666                                        // 000000007EB8: BF82F637

0000000000007ebc <label_1041>:
	s_nop 0                                                    // 000000007EBC: BF800000
	s_nop 0                                                    // 000000007EC0: BF800000
	s_branch label_1A1F                                        // 000000007EC4: BF8209C9

0000000000007ec8 <label_1044>:
	s_waitcnt lgkmcnt(0)                                       // 000000007EC8: BF8CC07F
	s_barrier                                                  // 000000007ECC: BF8A0000
	v_mfma_f32_16x16x16_bf16 v[52:55], a[96:97], a[0:1], 0     // 000000007ED0: D3E10034 1A020160
	v_mul_f32_e32 v148, s47, v148                              // 000000007ED8: 0B29282F
	v_mul_f32_e32 v149, s47, v149                              // 000000007EDC: 0B2B2A2F
	v_mfma_f32_16x16x16_bf16 v[52:55], a[98:99], a[2:3], v[52:55]// 000000007EE0: D3E10034 1CD20562
	ds_write_b32 v13, v48 offset:8704                          // 000000007EE8: D81A2200 0000300D
	ds_write_b32 v13, v49 offset:9760                          // 000000007EF0: D81A2620 0000310D
	v_mfma_f32_16x16x16_bf16 v[52:55], a[100:101], a[4:5], v[52:55]// 000000007EF8: D3E10034 1CD20964
	v_mul_f32_e32 v150, s47, v150                              // 000000007F00: 0B2D2C2F
	v_mul_f32_e32 v151, s47, v151                              // 000000007F04: 0B2F2E2F
	v_mfma_f32_16x16x16_bf16 v[52:55], a[102:103], a[6:7], v[52:55]// 000000007F08: D3E10034 1CD20D66
	ds_write_b32 v13, v50 offset:10880                         // 000000007F10: D81A2A80 0000320D
	ds_write_b32 v13, v51 offset:11936                         // 000000007F18: D81A2EA0 0000330D
	v_mfma_f32_16x16x16_bf16 v[56:59], a[96:97], a[8:9], 0     // 000000007F20: D3E10038 1A021160
	v_mul_f32_e32 v152, s47, v152                              // 000000007F28: 0B31302F
	v_mul_f32_e32 v153, s47, v153                              // 000000007F2C: 0B33322F
	v_mfma_f32_16x16x16_bf16 v[56:59], a[98:99], a[10:11], v[56:59]// 000000007F30: D3E10038 1CE21562
	ds_write_b64 v22, v[148:149] offset:31232                  // 000000007F38: D89A7A00 00009416
	v_mfma_f32_16x16x16_bf16 v[56:59], a[100:101], a[12:13], v[56:59]// 000000007F40: D3E10038 1CE21964
	v_mul_f32_e32 v154, s47, v154                              // 000000007F48: 0B35342F
	v_mul_f32_e32 v155, s47, v155                              // 000000007F4C: 0B37362F
	v_mfma_f32_16x16x16_bf16 v[56:59], a[102:103], a[14:15], v[56:59]// 000000007F50: D3E10038 1CE21D66
	ds_write_b64 v22, v[150:151] offset:31744                  // 000000007F58: D89A7C00 00009616
	v_mfma_f32_16x16x16_bf16 v[60:63], a[96:97], a[16:17], 0   // 000000007F60: D3E1003C 1A022160
	buffer_atomic_add_f32 v160, v8, s[32:35], 0 idxen          // 000000007F68: E1342000 8008A008
	v_mfma_f32_16x16x16_bf16 v[60:63], a[98:99], a[18:19], v[60:63]// 000000007F70: D3E1003C 1CF22562
	ds_write_b64 v22, v[152:153] offset:32256                  // 000000007F78: D89A7E00 00009816
	v_mfma_f32_16x16x16_bf16 v[60:63], a[100:101], a[20:21], v[60:63]// 000000007F80: D3E1003C 1CF22964
	v_mfma_f32_16x16x16_bf16 v[60:63], a[102:103], a[22:23], v[60:63]// 000000007F88: D3E1003C 1CF22D66
	ds_write_b64 v22, v[154:155] offset:32768                  // 000000007F90: D89A8000 00009A16
	v_mfma_f32_16x16x16_bf16 v[64:67], a[104:105], a[0:1], 0   // 000000007F98: D3E10040 1A020168
	buffer_atomic_add_f32 v161, v9, s[32:35], 0 idxen          // 000000007FA0: E1342000 8008A109
	v_mfma_f32_16x16x16_bf16 v[64:67], a[106:107], a[2:3], v[64:67]// 000000007FA8: D3E10040 1D02056A
	ds_read_b128 v[124:127], v14 offset:13056                  // 000000007FB0: D9FE3300 7C00000E
	ds_write_b32 v13, v40                                      // 000000007FB8: D81A0000 0000280D
	v_mfma_f32_16x16x16_bf16 v[64:67], a[108:109], a[4:5], v[64:67]// 000000007FC0: D3E10040 1D02096C
	v_mfma_f32_16x16x16_bf16 v[64:67], a[110:111], a[6:7], v[64:67]// 000000007FC8: D3E10040 1D020D6E
	v_mfma_f32_16x16x16_bf16 v[68:71], a[104:105], a[8:9], 0   // 000000007FD0: D3E10044 1A021168
	ds_read_b128 v[128:131], v14 offset:13568                  // 000000007FD8: D9FE3500 8000000E
	ds_write_b32 v13, v41 offset:1056                          // 000000007FE0: D81A0420 0000290D
	v_mfma_f32_16x16x16_bf16 v[68:71], a[106:107], a[10:11], v[68:71]// 000000007FE8: D3E10044 1D12156A
	buffer_atomic_add_f32 v162, v8, s[32:35], 0 idxen offset:128// 000000007FF0: E1342080 8008A208
	v_mfma_f32_16x16x16_bf16 v[68:71], a[108:109], a[12:13], v[68:71]// 000000007FF8: D3E10044 1D12196C
	v_mfma_f32_16x16x16_bf16 v[68:71], a[110:111], a[14:15], v[68:71]// 000000008000: D3E10044 1D121D6E
	ds_read_b128 v[132:135], v14 offset:15232                  // 000000008008: D9FE3B80 8400000E
	ds_write_b32 v13, v42 offset:2176                          // 000000008010: D81A0880 00002A0D
	v_mfma_f32_16x16x16_bf16 v[72:75], a[104:105], a[16:17], 0 // 000000008018: D3E10048 1A022168
	v_mfma_f32_16x16x16_bf16 v[72:75], a[106:107], a[18:19], v[72:75]// 000000008020: D3E10048 1D22256A
	buffer_atomic_add_f32 v163, v9, s[32:35], 0 idxen offset:128// 000000008028: E1342080 8008A309
	v_mfma_f32_16x16x16_bf16 v[72:75], a[108:109], a[20:21], v[72:75]// 000000008030: D3E10048 1D22296C
	ds_read_b128 v[136:139], v14 offset:15744                  // 000000008038: D9FE3D80 8800000E
	ds_write_b32 v13, v43 offset:3232                          // 000000008040: D81A0CA0 00002B0D
	v_mfma_f32_16x16x16_bf16 v[72:75], a[110:111], a[22:23], v[72:75]// 000000008048: D3E10048 1D222D6E
	s_cmp_eq_i32 s94, 0                                        // 000000008050: BF00805E
	s_cbranch_scc1 label_11A1                                  // 000000008054: BF8500F0
	s_cmp_lt_i32 s74, 6                                        // 000000008058: BF04864A
	s_cbranch_scc0 label_1128                                  // 00000000805C: BF84007E
	s_lshl_b32 s60, s74, 5                                     // 000000008060: 8E3C854A
	s_lshl_b32 s61, 0, 4                                       // 000000008064: 8E3D8480
	s_add_i32 s60, s60, s61                                    // 000000008068: 813C3D3C
	v_sub_i32 v32, v236, s60                                   // 00000000806C: D29D0020 000079EC
	s_mov_b32 s61, 0                                           // 000000008074: BEBD0080
	v_add_i32 v33, v32, s61                                    // 000000008078: D29C0021 00007B20
	v_cmp_gt_i32_e64 s[90:91], v33, 0                          // 000000008080: D0C4005A 00010121
	v_cmp_gt_i32_e64 s[92:93], v33, 1                          // 000000008088: D0C4005C 00010321
	v_cndmask_b32_e64 v52, v52, v178, s[90:91]                 // 000000008090: D1000034 016B6534
	v_cndmask_b32_e64 v53, v53, v178, s[92:93]                 // 000000008098: D1000035 01736535
	v_cmp_gt_i32_e64 s[90:91], v33, 2                          // 0000000080A0: D0C4005A 00010521
	v_cmp_gt_i32_e64 s[92:93], v33, 3                          // 0000000080A8: D0C4005C 00010721
	v_cndmask_b32_e64 v54, v54, v178, s[90:91]                 // 0000000080B0: D1000036 016B6536
	v_cndmask_b32_e64 v55, v55, v178, s[92:93]                 // 0000000080B8: D1000037 01736537
	s_mov_b32 s61, 64                                          // 0000000080C0: BEBD00C0
	v_add_i32 v33, v32, s61                                    // 0000000080C4: D29C0021 00007B20
	v_cmp_gt_i32_e64 s[90:91], v33, 0                          // 0000000080CC: D0C4005A 00010121
	v_cmp_gt_i32_e64 s[92:93], v33, 1                          // 0000000080D4: D0C4005C 00010321
	v_cndmask_b32_e64 v56, v56, v178, s[90:91]                 // 0000000080DC: D1000038 016B6538
	v_cndmask_b32_e64 v57, v57, v178, s[92:93]                 // 0000000080E4: D1000039 01736539
	v_cmp_gt_i32_e64 s[90:91], v33, 2                          // 0000000080EC: D0C4005A 00010521
	v_cmp_gt_i32_e64 s[92:93], v33, 3                          // 0000000080F4: D0C4005C 00010721
	v_cndmask_b32_e64 v58, v58, v178, s[90:91]                 // 0000000080FC: D100003A 016B653A
	v_cndmask_b32_e64 v59, v59, v178, s[92:93]                 // 000000008104: D100003B 0173653B
	s_mov_b32 s61, 0x80                                        // 00000000810C: BEBD00FF 00000080
	v_add_i32 v33, v32, s61                                    // 000000008114: D29C0021 00007B20
	v_cmp_gt_i32_e64 s[90:91], v33, 0                          // 00000000811C: D0C4005A 00010121
	v_cmp_gt_i32_e64 s[92:93], v33, 1                          // 000000008124: D0C4005C 00010321
	v_cndmask_b32_e64 v60, v60, v178, s[90:91]                 // 00000000812C: D100003C 016B653C
	v_cndmask_b32_e64 v61, v61, v178, s[92:93]                 // 000000008134: D100003D 0173653D
	v_cmp_gt_i32_e64 s[90:91], v33, 2                          // 00000000813C: D0C4005A 00010521
	v_cmp_gt_i32_e64 s[92:93], v33, 3                          // 000000008144: D0C4005C 00010721
	v_cndmask_b32_e64 v62, v62, v178, s[90:91]                 // 00000000814C: D100003E 016B653E
	v_cndmask_b32_e64 v63, v63, v178, s[92:93]                 // 000000008154: D100003F 0173653F
	s_lshl_b32 s60, s74, 5                                     // 00000000815C: 8E3C854A
	s_lshl_b32 s61, 1, 4                                       // 000000008160: 8E3D8481
	s_add_i32 s60, s60, s61                                    // 000000008164: 813C3D3C
	v_sub_i32 v32, v236, s60                                   // 000000008168: D29D0020 000079EC
	s_mov_b32 s61, 0                                           // 000000008170: BEBD0080
	v_add_i32 v33, v32, s61                                    // 000000008174: D29C0021 00007B20
	v_cmp_gt_i32_e64 s[90:91], v33, 0                          // 00000000817C: D0C4005A 00010121
	v_cmp_gt_i32_e64 s[92:93], v33, 1                          // 000000008184: D0C4005C 00010321
	v_cndmask_b32_e64 v64, v64, v178, s[90:91]                 // 00000000818C: D1000040 016B6540
	v_cndmask_b32_e64 v65, v65, v178, s[92:93]                 // 000000008194: D1000041 01736541
	v_cmp_gt_i32_e64 s[90:91], v33, 2                          // 00000000819C: D0C4005A 00010521
	v_cmp_gt_i32_e64 s[92:93], v33, 3                          // 0000000081A4: D0C4005C 00010721
	v_cndmask_b32_e64 v66, v66, v178, s[90:91]                 // 0000000081AC: D1000042 016B6542
	v_cndmask_b32_e64 v67, v67, v178, s[92:93]                 // 0000000081B4: D1000043 01736543
	s_mov_b32 s61, 64                                          // 0000000081BC: BEBD00C0
	v_add_i32 v33, v32, s61                                    // 0000000081C0: D29C0021 00007B20
	v_cmp_gt_i32_e64 s[90:91], v33, 0                          // 0000000081C8: D0C4005A 00010121
	v_cmp_gt_i32_e64 s[92:93], v33, 1                          // 0000000081D0: D0C4005C 00010321
	v_cndmask_b32_e64 v68, v68, v178, s[90:91]                 // 0000000081D8: D1000044 016B6544
	v_cndmask_b32_e64 v69, v69, v178, s[92:93]                 // 0000000081E0: D1000045 01736545
	v_cmp_gt_i32_e64 s[90:91], v33, 2                          // 0000000081E8: D0C4005A 00010521
	v_cmp_gt_i32_e64 s[92:93], v33, 3                          // 0000000081F0: D0C4005C 00010721
	v_cndmask_b32_e64 v70, v70, v178, s[90:91]                 // 0000000081F8: D1000046 016B6546
	v_cndmask_b32_e64 v71, v71, v178, s[92:93]                 // 000000008200: D1000047 01736547
	s_mov_b32 s61, 0x80                                        // 000000008208: BEBD00FF 00000080
	v_add_i32 v33, v32, s61                                    // 000000008210: D29C0021 00007B20
	v_cmp_gt_i32_e64 s[90:91], v33, 0                          // 000000008218: D0C4005A 00010121
	v_cmp_gt_i32_e64 s[92:93], v33, 1                          // 000000008220: D0C4005C 00010321
	v_cndmask_b32_e64 v72, v72, v178, s[90:91]                 // 000000008228: D1000048 016B6548
	v_cndmask_b32_e64 v73, v73, v178, s[92:93]                 // 000000008230: D1000049 01736549
	v_cmp_gt_i32_e64 s[90:91], v33, 2                          // 000000008238: D0C4005A 00010521
	v_cmp_gt_i32_e64 s[92:93], v33, 3                          // 000000008240: D0C4005C 00010721
	v_cndmask_b32_e64 v74, v74, v178, s[90:91]                 // 000000008248: D100004A 016B654A
	v_cndmask_b32_e64 v75, v75, v178, s[92:93]                 // 000000008250: D100004B 0173654B

0000000000008258 <label_1128>:
	s_cmp_lt_i32 s101, 0xc0                                    // 000000008258: BF04FF65 000000C0
	s_cbranch_scc0 label_11A1                                  // 000000008260: BF84006D
	s_cmp_le_i32 s101, 64                                      // 000000008264: BF05C065
	s_cbranch_scc1 label_1134                                  // 000000008268: BF850007
	s_cmp_le_i32 s101, 0x80                                    // 00000000826C: BF05FF65 00000080
	s_cbranch_scc1 label_1158                                  // 000000008274: BF85001F
	s_cmp_lt_i32 s101, 0xc0                                    // 000000008278: BF04FF65 000000C0
	s_cbranch_scc1 label_117C                                  // 000000008280: BF850040
	s_branch label_11A1                                        // 000000008284: BF820064

0000000000008288 <label_1134>:
	s_mov_b32 s60, 0                                           // 000000008288: BEBC0080
	v_and_b32_e32 v32, 15, v0                                  // 00000000828C: 2640008F
	v_add_u32_e64 v32, v32, s60                                // 000000008290: D1340020 00007920
	v_mul_i32_i24_e64 v33, s46, 16                             // 000000008298: D1060021 0001202E
	v_add_u32_e32 v32, v32, v33                                // 0000000082A0: 68404320
	v_cmp_lt_u32_e64 s[60:61], v32, s101                       // 0000000082A4: D0C9003C 0000CB20
	s_nop 1                                                    // 0000000082AC: BF800001
	v_cndmask_b32_e64 v52, v178, v52, s[60:61]                 // 0000000082B0: D1000034 00F269B2
	v_cndmask_b32_e64 v64, v178, v64, s[60:61]                 // 0000000082B8: D1000040 00F281B2
	v_cndmask_b32_e64 v53, v178, v53, s[60:61]                 // 0000000082C0: D1000035 00F26BB2
	v_cndmask_b32_e64 v65, v178, v65, s[60:61]                 // 0000000082C8: D1000041 00F283B2
	v_cndmask_b32_e64 v54, v178, v54, s[60:61]                 // 0000000082D0: D1000036 00F26DB2
	v_cndmask_b32_e64 v66, v178, v66, s[60:61]                 // 0000000082D8: D1000042 00F285B2
	v_cndmask_b32_e64 v55, v178, v55, s[60:61]                 // 0000000082E0: D1000037 00F26FB2
	v_cndmask_b32_e64 v67, v178, v67, s[60:61]                 // 0000000082E8: D1000043 00F287B2
	s_branch label_1173                                        // 0000000082F0: BF82001B

00000000000082f4 <label_1158>:
	s_mov_b32 s60, 64                                          // 0000000082F4: BEBC00C0
	v_and_b32_e32 v32, 15, v0                                  // 0000000082F8: 2640008F
	v_add_u32_e64 v32, v32, s60                                // 0000000082FC: D1340020 00007920
	v_mul_i32_i24_e64 v33, s46, 16                             // 000000008304: D1060021 0001202E
	v_add_u32_e32 v32, v32, v33                                // 00000000830C: 68404320
	v_cmp_lt_u32_e64 s[60:61], v32, s101                       // 000000008310: D0C9003C 0000CB20
	s_nop 1                                                    // 000000008318: BF800001
	v_cndmask_b32_e64 v56, v178, v56, s[60:61]                 // 00000000831C: D1000038 00F271B2
	v_cndmask_b32_e64 v68, v178, v68, s[60:61]                 // 000000008324: D1000044 00F289B2
	v_cndmask_b32_e64 v57, v178, v57, s[60:61]                 // 00000000832C: D1000039 00F273B2
	v_cndmask_b32_e64 v69, v178, v69, s[60:61]                 // 000000008334: D1000045 00F28BB2
	v_cndmask_b32_e64 v58, v178, v58, s[60:61]                 // 00000000833C: D100003A 00F275B2
	v_cndmask_b32_e64 v70, v178, v70, s[60:61]                 // 000000008344: D1000046 00F28DB2
	v_cndmask_b32_e64 v59, v178, v59, s[60:61]                 // 00000000834C: D100003B 00F277B2
	v_cndmask_b32_e64 v71, v178, v71, s[60:61]                 // 000000008354: D1000047 00F28FB2
	s_branch label_1198                                        // 00000000835C: BF820025

0000000000008360 <label_1173>:
	v_mov_b32_e32 v56, v178                                    // 000000008360: 7E7003B2
	v_mov_b32_e32 v68, v178                                    // 000000008364: 7E8803B2
	v_mov_b32_e32 v57, v178                                    // 000000008368: 7E7203B2
	v_mov_b32_e32 v69, v178                                    // 00000000836C: 7E8A03B2
	v_mov_b32_e32 v58, v178                                    // 000000008370: 7E7403B2
	v_mov_b32_e32 v70, v178                                    // 000000008374: 7E8C03B2
	v_mov_b32_e32 v59, v178                                    // 000000008378: 7E7603B2
	v_mov_b32_e32 v71, v178                                    // 00000000837C: 7E8E03B2
	s_branch label_1198                                        // 000000008380: BF82001C

0000000000008384 <label_117C>:
	s_mov_b32 s60, 0x80                                        // 000000008384: BEBC00FF 00000080
	v_and_b32_e32 v32, 15, v0                                  // 00000000838C: 2640008F
	v_add_u32_e64 v32, v32, s60                                // 000000008390: D1340020 00007920
	v_mul_i32_i24_e64 v33, s46, 16                             // 000000008398: D1060021 0001202E
	v_add_u32_e32 v32, v32, v33                                // 0000000083A0: 68404320
	v_cmp_lt_u32_e64 s[60:61], v32, s101                       // 0000000083A4: D0C9003C 0000CB20
	s_nop 1                                                    // 0000000083AC: BF800001
	v_cndmask_b32_e64 v60, v178, v60, s[60:61]                 // 0000000083B0: D100003C 00F279B2
	v_cndmask_b32_e64 v72, v178, v72, s[60:61]                 // 0000000083B8: D1000048 00F291B2
	v_cndmask_b32_e64 v61, v178, v61, s[60:61]                 // 0000000083C0: D100003D 00F27BB2
	v_cndmask_b32_e64 v73, v178, v73, s[60:61]                 // 0000000083C8: D1000049 00F293B2
	v_cndmask_b32_e64 v62, v178, v62, s[60:61]                 // 0000000083D0: D100003E 00F27DB2
	v_cndmask_b32_e64 v74, v178, v74, s[60:61]                 // 0000000083D8: D100004A 00F295B2
	v_cndmask_b32_e64 v63, v178, v63, s[60:61]                 // 0000000083E0: D100003F 00F27FB2
	v_cndmask_b32_e64 v75, v178, v75, s[60:61]                 // 0000000083E8: D100004B 00F297B2
	s_branch label_11A1                                        // 0000000083F0: BF820009

00000000000083f4 <label_1198>:
	v_mov_b32_e32 v60, v178                                    // 0000000083F4: 7E7803B2
	v_mov_b32_e32 v72, v178                                    // 0000000083F8: 7E9003B2
	v_mov_b32_e32 v61, v178                                    // 0000000083FC: 7E7A03B2
	v_mov_b32_e32 v73, v178                                    // 000000008400: 7E9203B2
	v_mov_b32_e32 v62, v178                                    // 000000008404: 7E7C03B2
	v_mov_b32_e32 v74, v178                                    // 000000008408: 7E9403B2
	v_mov_b32_e32 v63, v178                                    // 00000000840C: 7E7E03B2
	v_mov_b32_e32 v75, v178                                    // 000000008410: 7E9603B2
	s_branch label_11A1                                        // 000000008414: BF820000

0000000000008418 <label_11A1>:
	s_addk_i32 s74, 0x1                                        // 000000008418: B74A0001
	s_waitcnt lgkmcnt(8)                                       // 00000000841C: BF8CC87F
	s_barrier                                                  // 000000008420: BF8A0000
	v_mfma_f32_16x16x16_bf16 v[76:79], v[108:109], a[72:73], 0 // 000000008424: D3E1004C 1202916C
	v_fma_f32 v52, v52, s57, -v140                             // 00000000842C: D1CB0034 86307334
	v_fma_f32 v53, v53, s57, -v141                             // 000000008434: D1CB0035 86347335
	v_fma_f32 v54, v54, s57, -v142                             // 00000000843C: D1CB0036 86387336
	v_fma_f32 v55, v55, s57, -v143                             // 000000008444: D1CB0037 863C7337
	v_fma_f32 v56, v56, s57, -v140                             // 00000000844C: D1CB0038 86307338
	v_fma_f32 v57, v57, s57, -v141                             // 000000008454: D1CB0039 86347339
	v_mfma_f32_16x16x16_bf16 v[76:79], v[110:111], a[74:75], v[76:79]// 00000000845C: D3E1004C 1532956E
	ds_read_b128 a[96:99], v14 offset:4352                     // 000000008464: DBFE1100 6000000E
	ds_read_b128 a[100:103], v14 offset:4864                   // 00000000846C: DBFE1300 6400000E
	v_mfma_f32_16x16x16_bf16 v[76:79], v[112:113], a[76:77], v[76:79]// 000000008474: D3E1004C 15329970
	v_fma_f32 v58, v58, s57, -v142                             // 00000000847C: D1CB003A 8638733A
	v_fma_f32 v59, v59, s57, -v143                             // 000000008484: D1CB003B 863C733B
	v_fma_f32 v60, v60, s57, -v140                             // 00000000848C: D1CB003C 8630733C
	v_fma_f32 v61, v61, s57, -v141                             // 000000008494: D1CB003D 8634733D
	v_fma_f32 v62, v62, s57, -v142                             // 00000000849C: D1CB003E 8638733E
	v_fma_f32 v63, v63, s57, -v143                             // 0000000084A4: D1CB003F 863C733F
	v_mfma_f32_16x16x16_bf16 v[76:79], v[114:115], a[78:79], v[76:79]// 0000000084AC: D3E1004C 15329D72
	v_fma_f32 v64, v64, s57, -v144                             // 0000000084B4: D1CB0040 86407340
	v_fma_f32 v65, v65, s57, -v145                             // 0000000084BC: D1CB0041 86447341
	v_fma_f32 v66, v66, s57, -v146                             // 0000000084C4: D1CB0042 86487342
	v_fma_f32 v67, v67, s57, -v147                             // 0000000084CC: D1CB0043 864C7343
	v_fma_f32 v68, v68, s57, -v144                             // 0000000084D4: D1CB0044 86407344
	v_fma_f32 v69, v69, s57, -v145                             // 0000000084DC: D1CB0045 86447345
	v_mfma_f32_16x16x16_bf16 v[80:83], v[108:109], a[80:81], 0 // 0000000084E4: D3E10050 1202A16C
	v_fma_f32 v70, v70, s57, -v146                             // 0000000084EC: D1CB0046 86487346
	v_fma_f32 v71, v71, s57, -v147                             // 0000000084F4: D1CB0047 864C7347
	v_fma_f32 v72, v72, s57, -v144                             // 0000000084FC: D1CB0048 86407348
	v_fma_f32 v73, v73, s57, -v145                             // 000000008504: D1CB0049 86447349
	v_fma_f32 v74, v74, s57, -v146                             // 00000000850C: D1CB004A 8648734A
	v_fma_f32 v75, v75, s57, -v147                             // 000000008514: D1CB004B 864C734B
	v_mfma_f32_16x16x16_bf16 v[80:83], v[110:111], a[82:83], v[80:83]// 00000000851C: D3E10050 1542A56E
	ds_read_b128 a[104:107], v14 offset:6528                   // 000000008524: DBFE1980 6800000E
	ds_read_b128 a[108:111], v14 offset:7040                   // 00000000852C: DBFE1B80 6C00000E
	v_mfma_f32_16x16x16_bf16 v[80:83], v[112:113], a[84:85], v[80:83]// 000000008534: D3E10050 1542A970
	v_exp_f32_e32 v52, v52                                     // 00000000853C: 7E684134
	v_exp_f32_e32 v53, v53                                     // 000000008540: 7E6A4135
	v_mfma_f32_16x16x16_bf16 v[80:83], v[114:115], a[86:87], v[80:83]// 000000008544: D3E10050 1542AD72
	v_exp_f32_e32 v54, v54                                     // 00000000854C: 7E6C4136
	v_exp_f32_e32 v55, v55                                     // 000000008550: 7E6E4137
	v_mfma_f32_16x16x16_bf16 v[84:87], v[108:109], a[88:89], 0 // 000000008554: D3E10054 1202B16C
	v_exp_f32_e32 v56, v56                                     // 00000000855C: 7E704138
	v_exp_f32_e32 v57, v57                                     // 000000008560: 7E724139
	v_mfma_f32_16x16x16_bf16 v[84:87], v[110:111], a[90:91], v[84:87]// 000000008564: D3E10054 1552B56E
	ds_read_b64 v[156:157], v21 offset:31232                   // 00000000856C: D8EC7A00 9C000015
	ds_read_b64 v[158:159], v21 offset:33280                   // 000000008574: D8EC8200 9E000015
	v_mfma_f32_16x16x16_bf16 v[84:87], v[112:113], a[92:93], v[84:87]// 00000000857C: D3E10054 1552B970
	v_exp_f32_e32 v58, v58                                     // 000000008584: 7E74413A
	v_exp_f32_e32 v59, v59                                     // 000000008588: 7E76413B
	v_mfma_f32_16x16x16_bf16 v[84:87], v[114:115], a[94:95], v[84:87]// 00000000858C: D3E10054 1552BD72
	ds_read_b64 v[160:161], v21 offset:35328                   // 000000008594: D8EC8A00 A0000015
	ds_read_b64 v[162:163], v21 offset:37376                   // 00000000859C: D8EC9200 A2000015
	v_mfma_f32_16x16x16_bf16 v[88:91], v[116:117], a[72:73], 0 // 0000000085A4: D3E10058 12029174
	v_exp_f32_e32 v60, v60                                     // 0000000085AC: 7E78413C
	v_exp_f32_e32 v61, v61                                     // 0000000085B0: 7E7A413D
	v_mfma_f32_16x16x16_bf16 v[88:91], v[118:119], a[74:75], v[88:91]// 0000000085B4: D3E10058 15629576
	v_exp_f32_e32 v62, v62                                     // 0000000085BC: 7E7C413E
	v_exp_f32_e32 v63, v63                                     // 0000000085C0: 7E7E413F
	v_mfma_f32_16x16x16_bf16 v[88:91], v[120:121], a[76:77], v[88:91]// 0000000085C4: D3E10058 15629978
	v_exp_f32_e32 v64, v64                                     // 0000000085CC: 7E804140
	v_exp_f32_e32 v65, v65                                     // 0000000085D0: 7E824141
	v_mfma_f32_16x16x16_bf16 v[88:91], v[122:123], a[78:79], v[88:91]// 0000000085D4: D3E10058 15629D7A
	v_exp_f32_e32 v66, v66                                     // 0000000085DC: 7E844142
	v_exp_f32_e32 v67, v67                                     // 0000000085E0: 7E864143
	v_mfma_f32_16x16x16_bf16 v[92:95], v[116:117], a[80:81], 0 // 0000000085E4: D3E1005C 1202A174
	v_exp_f32_e32 v68, v68                                     // 0000000085EC: 7E884144
	v_exp_f32_e32 v69, v69                                     // 0000000085F0: 7E8A4145
	v_mfma_f32_16x16x16_bf16 v[92:95], v[118:119], a[82:83], v[92:95]// 0000000085F4: D3E1005C 1572A576
	v_exp_f32_e32 v70, v70                                     // 0000000085FC: 7E8C4146
	v_exp_f32_e32 v71, v71                                     // 000000008600: 7E8E4147
	v_mfma_f32_16x16x16_bf16 v[92:95], v[120:121], a[84:85], v[92:95]// 000000008604: D3E1005C 1572A978
	v_exp_f32_e32 v72, v72                                     // 00000000860C: 7E904148
	v_exp_f32_e32 v73, v73                                     // 000000008610: 7E924149
	v_mfma_f32_16x16x16_bf16 v[92:95], v[122:123], a[86:87], v[92:95]// 000000008614: D3E1005C 1572AD7A
	v_exp_f32_e32 v74, v74                                     // 00000000861C: 7E94414A
	v_exp_f32_e32 v75, v75                                     // 000000008620: 7E96414B
	v_mfma_f32_16x16x16_bf16 v[96:99], v[116:117], a[88:89], 0 // 000000008624: D3E10060 1202B174
	v_cmp_u_f32_e64 s[78:79], v52, v52                         // 00000000862C: D048004E 00026934
	v_add3_u32 v228, v52, v231, 1                              // 000000008634: D1FF00E4 0207CF34
	v_cndmask_b32_e64 v32, v228, v230, s[78:79]                // 00000000863C: D1000020 013BCDE4
	v_cmp_u_f32_e64 s[78:79], v53, v53                         // 000000008644: D048004E 00026B35
	v_add3_u32 v228, v53, v231, 1                              // 00000000864C: D1FF00E4 0207CF35
	v_cndmask_b32_e64 v33, v228, v230, s[78:79]                // 000000008654: D1000021 013BCDE4
	v_perm_b32 v164, v33, v32, s64                             // 00000000865C: D1ED00A4 01024121
	v_cmp_u_f32_e64 s[78:79], v54, v54                         // 000000008664: D048004E 00026D36
	v_add3_u32 v228, v54, v231, 1                              // 00000000866C: D1FF00E4 0207CF36
	v_cndmask_b32_e64 v32, v228, v230, s[78:79]                // 000000008674: D1000020 013BCDE4
	v_cmp_u_f32_e64 s[78:79], v55, v55                         // 00000000867C: D048004E 00026F37
	v_add3_u32 v228, v55, v231, 1                              // 000000008684: D1FF00E4 0207CF37
	v_cndmask_b32_e64 v33, v228, v230, s[78:79]                // 00000000868C: D1000021 013BCDE4
	v_perm_b32 v165, v33, v32, s64                             // 000000008694: D1ED00A5 01024121
	v_cmp_u_f32_e64 s[78:79], v56, v56                         // 00000000869C: D048004E 00027138
	v_add3_u32 v228, v56, v231, 1                              // 0000000086A4: D1FF00E4 0207CF38
	v_cndmask_b32_e64 v32, v228, v230, s[78:79]                // 0000000086AC: D1000020 013BCDE4
	v_cmp_u_f32_e64 s[78:79], v57, v57                         // 0000000086B4: D048004E 00027339
	v_add3_u32 v228, v57, v231, 1                              // 0000000086BC: D1FF00E4 0207CF39
	v_cndmask_b32_e64 v33, v228, v230, s[78:79]                // 0000000086C4: D1000021 013BCDE4
	v_perm_b32 v166, v33, v32, s64                             // 0000000086CC: D1ED00A6 01024121
	v_cmp_u_f32_e64 s[78:79], v58, v58                         // 0000000086D4: D048004E 0002753A
	v_add3_u32 v228, v58, v231, 1                              // 0000000086DC: D1FF00E4 0207CF3A
	v_cndmask_b32_e64 v32, v228, v230, s[78:79]                // 0000000086E4: D1000020 013BCDE4
	v_cmp_u_f32_e64 s[78:79], v59, v59                         // 0000000086EC: D048004E 0002773B
	v_add3_u32 v228, v59, v231, 1                              // 0000000086F4: D1FF00E4 0207CF3B
	v_cndmask_b32_e64 v33, v228, v230, s[78:79]                // 0000000086FC: D1000021 013BCDE4
	v_perm_b32 v167, v33, v32, s64                             // 000000008704: D1ED00A7 01024121
	v_cmp_u_f32_e64 s[78:79], v60, v60                         // 00000000870C: D048004E 0002793C
	v_add3_u32 v228, v60, v231, 1                              // 000000008714: D1FF00E4 0207CF3C
	v_cndmask_b32_e64 v32, v228, v230, s[78:79]                // 00000000871C: D1000020 013BCDE4
	v_cmp_u_f32_e64 s[78:79], v61, v61                         // 000000008724: D048004E 00027B3D
	v_add3_u32 v228, v61, v231, 1                              // 00000000872C: D1FF00E4 0207CF3D
	v_cndmask_b32_e64 v33, v228, v230, s[78:79]                // 000000008734: D1000021 013BCDE4
	v_perm_b32 v168, v33, v32, s64                             // 00000000873C: D1ED00A8 01024121
	v_cmp_u_f32_e64 s[78:79], v62, v62                         // 000000008744: D048004E 00027D3E
	v_add3_u32 v228, v62, v231, 1                              // 00000000874C: D1FF00E4 0207CF3E
	v_cndmask_b32_e64 v32, v228, v230, s[78:79]                // 000000008754: D1000020 013BCDE4
	v_cmp_u_f32_e64 s[78:79], v63, v63                         // 00000000875C: D048004E 00027F3F
	v_add3_u32 v228, v63, v231, 1                              // 000000008764: D1FF00E4 0207CF3F
	v_cndmask_b32_e64 v33, v228, v230, s[78:79]                // 00000000876C: D1000021 013BCDE4
	v_perm_b32 v169, v33, v32, s64                             // 000000008774: D1ED00A9 01024121
	v_mfma_f32_16x16x16_bf16 v[96:99], v[118:119], a[90:91], v[96:99]// 00000000877C: D3E10060 1582B576
	v_cmp_u_f32_e64 s[78:79], v64, v64                         // 000000008784: D048004E 00028140
	v_add3_u32 v228, v64, v231, 1                              // 00000000878C: D1FF00E4 0207CF40
	v_cndmask_b32_e64 v32, v228, v230, s[78:79]                // 000000008794: D1000020 013BCDE4
	v_cmp_u_f32_e64 s[78:79], v65, v65                         // 00000000879C: D048004E 00028341
	v_add3_u32 v228, v65, v231, 1                              // 0000000087A4: D1FF00E4 0207CF41
	v_cndmask_b32_e64 v33, v228, v230, s[78:79]                // 0000000087AC: D1000021 013BCDE4
	v_perm_b32 v170, v33, v32, s64                             // 0000000087B4: D1ED00AA 01024121
	v_cmp_u_f32_e64 s[78:79], v66, v66                         // 0000000087BC: D048004E 00028542
	v_add3_u32 v228, v66, v231, 1                              // 0000000087C4: D1FF00E4 0207CF42
	v_cndmask_b32_e64 v32, v228, v230, s[78:79]                // 0000000087CC: D1000020 013BCDE4
	v_cmp_u_f32_e64 s[78:79], v67, v67                         // 0000000087D4: D048004E 00028743
	v_add3_u32 v228, v67, v231, 1                              // 0000000087DC: D1FF00E4 0207CF43
	v_cndmask_b32_e64 v33, v228, v230, s[78:79]                // 0000000087E4: D1000021 013BCDE4
	v_perm_b32 v171, v33, v32, s64                             // 0000000087EC: D1ED00AB 01024121
	v_cmp_u_f32_e64 s[78:79], v68, v68                         // 0000000087F4: D048004E 00028944
	v_add3_u32 v228, v68, v231, 1                              // 0000000087FC: D1FF00E4 0207CF44
	v_cndmask_b32_e64 v32, v228, v230, s[78:79]                // 000000008804: D1000020 013BCDE4
	v_cmp_u_f32_e64 s[78:79], v69, v69                         // 00000000880C: D048004E 00028B45
	v_add3_u32 v228, v69, v231, 1                              // 000000008814: D1FF00E4 0207CF45
	v_cndmask_b32_e64 v33, v228, v230, s[78:79]                // 00000000881C: D1000021 013BCDE4
	v_perm_b32 v172, v33, v32, s64                             // 000000008824: D1ED00AC 01024121
	v_cmp_u_f32_e64 s[78:79], v70, v70                         // 00000000882C: D048004E 00028D46
	v_add3_u32 v228, v70, v231, 1                              // 000000008834: D1FF00E4 0207CF46
	v_cndmask_b32_e64 v32, v228, v230, s[78:79]                // 00000000883C: D1000020 013BCDE4
	v_cmp_u_f32_e64 s[78:79], v71, v71                         // 000000008844: D048004E 00028F47
	v_add3_u32 v228, v71, v231, 1                              // 00000000884C: D1FF00E4 0207CF47
	v_cndmask_b32_e64 v33, v228, v230, s[78:79]                // 000000008854: D1000021 013BCDE4
	v_perm_b32 v173, v33, v32, s64                             // 00000000885C: D1ED00AD 01024121
	v_cmp_u_f32_e64 s[78:79], v72, v72                         // 000000008864: D048004E 00029148
	v_add3_u32 v228, v72, v231, 1                              // 00000000886C: D1FF00E4 0207CF48
	v_cndmask_b32_e64 v32, v228, v230, s[78:79]                // 000000008874: D1000020 013BCDE4
	v_cmp_u_f32_e64 s[78:79], v73, v73                         // 00000000887C: D048004E 00029349
	v_add3_u32 v228, v73, v231, 1                              // 000000008884: D1FF00E4 0207CF49
	v_cndmask_b32_e64 v33, v228, v230, s[78:79]                // 00000000888C: D1000021 013BCDE4
	v_perm_b32 v174, v33, v32, s64                             // 000000008894: D1ED00AE 01024121
	v_cmp_u_f32_e64 s[78:79], v74, v74                         // 00000000889C: D048004E 0002954A
	v_add3_u32 v228, v74, v231, 1                              // 0000000088A4: D1FF00E4 0207CF4A
	v_cndmask_b32_e64 v32, v228, v230, s[78:79]                // 0000000088AC: D1000020 013BCDE4
	v_cmp_u_f32_e64 s[78:79], v75, v75                         // 0000000088B4: D048004E 0002974B
	v_add3_u32 v228, v75, v231, 1                              // 0000000088BC: D1FF00E4 0207CF4B
	v_cndmask_b32_e64 v33, v228, v230, s[78:79]                // 0000000088C4: D1000021 013BCDE4
	v_perm_b32 v175, v33, v32, s64                             // 0000000088CC: D1ED00AF 01024121
	v_mfma_f32_16x16x16_bf16 v[96:99], v[120:121], a[92:93], v[96:99]// 0000000088D4: D3E10060 1582B978
	v_add_u32_e32 v6, s66, v6                                  // 0000000088DC: 680C0C42
	v_add_u32_e32 v7, s66, v7                                  // 0000000088E0: 680E0E42
	v_add_u32_e32 v8, s66, v8                                  // 0000000088E4: 68101042
	v_add_u32_e32 v9, s66, v9                                  // 0000000088E8: 68121242
	v_mfma_f32_16x16x16_bf16 v[96:99], v[122:123], a[94:95], v[96:99]// 0000000088EC: D3E10060 1582BD7A
	s_waitcnt lgkmcnt(0)                                       // 0000000088F4: BF8CC07F
	s_barrier                                                  // 0000000088F8: BF8A0000
	v_mfma_f32_16x16x16_bf16 v[180:183], v[124:125], v[164:165], v[180:183]// 0000000088FC: D3E100B4 06D3497C
	v_subrev_f32_dpp v76, v176, v76 quad_perm:[0,0,0,0] row_mask:0xf bank_mask:0xf// 000000008904: 069898FA FF0000B0
	v_subrev_f32_dpp v77, v176, v77 quad_perm:[1,1,1,1] row_mask:0xf bank_mask:0xf// 00000000890C: 069A9AFA FF0055B0
	v_subrev_f32_dpp v78, v176, v78 quad_perm:[2,2,2,2] row_mask:0xf bank_mask:0xf// 000000008914: 069C9CFA FF00AAB0
	v_subrev_f32_dpp v79, v176, v79 quad_perm:[3,3,3,3] row_mask:0xf bank_mask:0xf// 00000000891C: 069E9EFA FF00FFB0
	v_subrev_f32_dpp v80, v176, v80 quad_perm:[0,0,0,0] row_mask:0xf bank_mask:0xf// 000000008924: 06A0A0FA FF0000B0
	v_subrev_f32_dpp v81, v176, v81 quad_perm:[1,1,1,1] row_mask:0xf bank_mask:0xf// 00000000892C: 06A2A2FA FF0055B0
	v_mfma_f32_16x16x16_bf16 v[184:187], v[126:127], v[164:165], v[184:187]// 000000008934: D3E100B8 06E3497E
	v_subrev_f32_dpp v82, v176, v82 quad_perm:[2,2,2,2] row_mask:0xf bank_mask:0xf// 00000000893C: 06A4A4FA FF00AAB0
	v_subrev_f32_dpp v83, v176, v83 quad_perm:[3,3,3,3] row_mask:0xf bank_mask:0xf// 000000008944: 06A6A6FA FF00FFB0
	v_subrev_f32_dpp v84, v176, v84 quad_perm:[0,0,0,0] row_mask:0xf bank_mask:0xf// 00000000894C: 06A8A8FA FF0000B0
	v_subrev_f32_dpp v85, v176, v85 quad_perm:[1,1,1,1] row_mask:0xf bank_mask:0xf// 000000008954: 06AAAAFA FF0055B0
	v_subrev_f32_dpp v86, v176, v86 quad_perm:[2,2,2,2] row_mask:0xf bank_mask:0xf// 00000000895C: 06ACACFA FF00AAB0
	v_subrev_f32_dpp v87, v176, v87 quad_perm:[3,3,3,3] row_mask:0xf bank_mask:0xf// 000000008964: 06AEAEFA FF00FFB0
	v_mfma_f32_16x16x16_bf16 v[188:191], v[128:129], v[164:165], v[188:191]// 00000000896C: D3E100BC 06F34980
	v_mul_f32_e32 v76, v52, v76                                // 000000008974: 0A989934
	v_mul_f32_e32 v77, v53, v77                                // 000000008978: 0A9A9B35
	v_mul_f32_e32 v78, v54, v78                                // 00000000897C: 0A9C9D36
	v_mul_f32_e32 v79, v55, v79                                // 000000008980: 0A9E9F37
	v_mul_f32_e32 v80, v56, v80                                // 000000008984: 0AA0A138
	v_mul_f32_e32 v81, v57, v81                                // 000000008988: 0AA2A339
	v_mfma_f32_16x16x16_bf16 v[192:195], v[130:131], v[164:165], v[192:195]// 00000000898C: D3E100C0 07034982
	v_mul_f32_e32 v82, v58, v82                                // 000000008994: 0AA4A53A
	v_mul_f32_e32 v83, v59, v83                                // 000000008998: 0AA6A73B
	v_mul_f32_e32 v84, v60, v84                                // 00000000899C: 0AA8A93C
	v_mul_f32_e32 v85, v61, v85                                // 0000000089A0: 0AAAAB3D
	v_mul_f32_e32 v86, v62, v86                                // 0000000089A4: 0AACAD3E
	v_mul_f32_e32 v87, v63, v87                                // 0000000089A8: 0AAEAF3F
	v_mfma_f32_16x16x16_bf16 v[196:199], v[124:125], v[166:167], v[196:199]// 0000000089AC: D3E100C4 07134D7C
	v_cmp_u_f32_e64 s[78:79], v76, v76                         // 0000000089B4: D048004E 0002994C
	v_add3_u32 v228, v76, v231, 1                              // 0000000089BC: D1FF00E4 0207CF4C
	v_cndmask_b32_e64 v32, v228, v230, s[78:79]                // 0000000089C4: D1000020 013BCDE4
	v_cmp_u_f32_e64 s[78:79], v77, v77                         // 0000000089CC: D048004E 00029B4D
	v_add3_u32 v228, v77, v231, 1                              // 0000000089D4: D1FF00E4 0207CF4D
	v_cndmask_b32_e64 v33, v228, v230, s[78:79]                // 0000000089DC: D1000021 013BCDE4
	v_perm_b32 v76, v33, v32, s64                              // 0000000089E4: D1ED004C 01024121
	v_cmp_u_f32_e64 s[78:79], v78, v78                         // 0000000089EC: D048004E 00029D4E
	v_add3_u32 v228, v78, v231, 1                              // 0000000089F4: D1FF00E4 0207CF4E
	v_cndmask_b32_e64 v32, v228, v230, s[78:79]                // 0000000089FC: D1000020 013BCDE4
	v_cmp_u_f32_e64 s[78:79], v79, v79                         // 000000008A04: D048004E 00029F4F
	v_add3_u32 v228, v79, v231, 1                              // 000000008A0C: D1FF00E4 0207CF4F
	v_cndmask_b32_e64 v33, v228, v230, s[78:79]                // 000000008A14: D1000021 013BCDE4
	v_perm_b32 v77, v33, v32, s64                              // 000000008A1C: D1ED004D 01024121
	v_cmp_u_f32_e64 s[78:79], v80, v80                         // 000000008A24: D048004E 0002A150
	v_add3_u32 v228, v80, v231, 1                              // 000000008A2C: D1FF00E4 0207CF50
	v_cndmask_b32_e64 v32, v228, v230, s[78:79]                // 000000008A34: D1000020 013BCDE4
	v_cmp_u_f32_e64 s[78:79], v81, v81                         // 000000008A3C: D048004E 0002A351
	v_add3_u32 v228, v81, v231, 1                              // 000000008A44: D1FF00E4 0207CF51
	v_cndmask_b32_e64 v33, v228, v230, s[78:79]                // 000000008A4C: D1000021 013BCDE4
	v_perm_b32 v78, v33, v32, s64                              // 000000008A54: D1ED004E 01024121
	v_cmp_u_f32_e64 s[78:79], v82, v82                         // 000000008A5C: D048004E 0002A552
	v_add3_u32 v228, v82, v231, 1                              // 000000008A64: D1FF00E4 0207CF52
	v_cndmask_b32_e64 v32, v228, v230, s[78:79]                // 000000008A6C: D1000020 013BCDE4
	v_cmp_u_f32_e64 s[78:79], v83, v83                         // 000000008A74: D048004E 0002A753
	v_add3_u32 v228, v83, v231, 1                              // 000000008A7C: D1FF00E4 0207CF53
	v_cndmask_b32_e64 v33, v228, v230, s[78:79]                // 000000008A84: D1000021 013BCDE4
	v_perm_b32 v79, v33, v32, s64                              // 000000008A8C: D1ED004F 01024121
	v_cmp_u_f32_e64 s[78:79], v84, v84                         // 000000008A94: D048004E 0002A954
	v_add3_u32 v228, v84, v231, 1                              // 000000008A9C: D1FF00E4 0207CF54
	v_cndmask_b32_e64 v32, v228, v230, s[78:79]                // 000000008AA4: D1000020 013BCDE4
	v_cmp_u_f32_e64 s[78:79], v85, v85                         // 000000008AAC: D048004E 0002AB55
	v_add3_u32 v228, v85, v231, 1                              // 000000008AB4: D1FF00E4 0207CF55
	v_cndmask_b32_e64 v33, v228, v230, s[78:79]                // 000000008ABC: D1000021 013BCDE4
	v_perm_b32 v80, v33, v32, s64                              // 000000008AC4: D1ED0050 01024121
	v_cmp_u_f32_e64 s[78:79], v86, v86                         // 000000008ACC: D048004E 0002AD56
	v_add3_u32 v228, v86, v231, 1                              // 000000008AD4: D1FF00E4 0207CF56
	v_cndmask_b32_e64 v32, v228, v230, s[78:79]                // 000000008ADC: D1000020 013BCDE4
	v_cmp_u_f32_e64 s[78:79], v87, v87                         // 000000008AE4: D048004E 0002AF57
	v_add3_u32 v228, v87, v231, 1                              // 000000008AEC: D1FF00E4 0207CF57
	v_cndmask_b32_e64 v33, v228, v230, s[78:79]                // 000000008AF4: D1000021 013BCDE4
	v_perm_b32 v81, v33, v32, s64                              // 000000008AFC: D1ED0051 01024121
	v_mfma_f32_16x16x16_bf16 v[200:203], v[126:127], v[166:167], v[200:203]// 000000008B04: D3E100C8 07234D7E
	v_mov_b32_dpp v18, v76 quad_perm:[1,0,3,2] row_mask:0xf bank_mask:0xf// 000000008B0C: 7E2402FA FF00B14C
	v_perm_b32 v52, v18, v76, v17                              // 000000008B14: D1ED0034 04469912
	v_mov_b32_dpp v18, v77 quad_perm:[1,0,3,2] row_mask:0xf bank_mask:0xf// 000000008B1C: 7E2402FA FF00B14D
	v_perm_b32 v53, v18, v77, v17                              // 000000008B24: D1ED0035 04469B12
	v_mov_b32_dpp v18, v78 quad_perm:[1,0,3,2] row_mask:0xf bank_mask:0xf// 000000008B2C: 7E2402FA FF00B14E
	v_perm_b32 v54, v18, v78, v17                              // 000000008B34: D1ED0036 04469D12
	v_mfma_f32_16x16x16_bf16 v[204:207], v[128:129], v[166:167], v[204:207]// 000000008B3C: D3E100CC 07334D80
	ds_write_b32 v20, v52 offset:17408                         // 000000008B44: D81A4400 00003414
	ds_write_b32 v20, v53 offset:17952                         // 000000008B4C: D81A4620 00003514
	v_mfma_f32_16x16x16_bf16 v[208:211], v[130:131], v[166:167], v[208:211]// 000000008B54: D3E100D0 07434D82
	v_mov_b32_dpp v18, v79 quad_perm:[1,0,3,2] row_mask:0xf bank_mask:0xf// 000000008B5C: 7E2402FA FF00B14F
	v_perm_b32 v55, v18, v79, v17                              // 000000008B64: D1ED0037 04469F12
	v_mov_b32_dpp v18, v80 quad_perm:[1,0,3,2] row_mask:0xf bank_mask:0xf// 000000008B6C: 7E2402FA FF00B150
	v_perm_b32 v56, v18, v80, v17                              // 000000008B74: D1ED0038 0446A112
	v_mov_b32_dpp v18, v81 quad_perm:[1,0,3,2] row_mask:0xf bank_mask:0xf// 000000008B7C: 7E2402FA FF00B151
	v_perm_b32 v57, v18, v81, v17                              // 000000008B84: D1ED0039 0446A312
	v_mfma_f32_16x16x16_bf16 v[212:215], v[124:125], v[168:169], v[212:215]// 000000008B8C: D3E100D4 0753517C
	ds_write_b32 v20, v54 offset:19712                         // 000000008B94: D81A4D00 00003614
	ds_write_b32 v20, v55 offset:20256                         // 000000008B9C: D81A4F20 00003714
	v_mfma_f32_16x16x16_bf16 v[216:219], v[126:127], v[168:169], v[216:219]// 000000008BA4: D3E100D8 0763517E
	v_subrev_f32_dpp v88, v177, v88 quad_perm:[0,0,0,0] row_mask:0xf bank_mask:0xf// 000000008BAC: 06B0B0FA FF0000B1
	v_subrev_f32_dpp v89, v177, v89 quad_perm:[1,1,1,1] row_mask:0xf bank_mask:0xf// 000000008BB4: 06B2B2FA FF0055B1
	v_subrev_f32_dpp v90, v177, v90 quad_perm:[2,2,2,2] row_mask:0xf bank_mask:0xf// 000000008BBC: 06B4B4FA FF00AAB1
	v_subrev_f32_dpp v91, v177, v91 quad_perm:[3,3,3,3] row_mask:0xf bank_mask:0xf// 000000008BC4: 06B6B6FA FF00FFB1
	v_subrev_f32_dpp v92, v177, v92 quad_perm:[0,0,0,0] row_mask:0xf bank_mask:0xf// 000000008BCC: 06B8B8FA FF0000B1
	v_subrev_f32_dpp v93, v177, v93 quad_perm:[1,1,1,1] row_mask:0xf bank_mask:0xf// 000000008BD4: 06BABAFA FF0055B1
	v_mfma_f32_16x16x16_bf16 v[220:223], v[128:129], v[168:169], v[220:223]// 000000008BDC: D3E100DC 07735180
	ds_write_b32 v20, v56 offset:22016                         // 000000008BE4: D81A5600 00003814
	ds_write_b32 v20, v57 offset:22560                         // 000000008BEC: D81A5820 00003914
	v_mfma_f32_16x16x16_bf16 v[224:227], v[130:131], v[168:169], v[224:227]// 000000008BF4: D3E100E0 07835182
	v_subrev_f32_dpp v94, v177, v94 quad_perm:[2,2,2,2] row_mask:0xf bank_mask:0xf// 000000008BFC: 06BCBCFA FF00AAB1
	v_subrev_f32_dpp v95, v177, v95 quad_perm:[3,3,3,3] row_mask:0xf bank_mask:0xf// 000000008C04: 06BEBEFA FF00FFB1
	v_subrev_f32_dpp v96, v177, v96 quad_perm:[0,0,0,0] row_mask:0xf bank_mask:0xf// 000000008C0C: 06C0C0FA FF0000B1
	v_subrev_f32_dpp v97, v177, v97 quad_perm:[1,1,1,1] row_mask:0xf bank_mask:0xf// 000000008C14: 06C2C2FA FF0055B1
	v_subrev_f32_dpp v98, v177, v98 quad_perm:[2,2,2,2] row_mask:0xf bank_mask:0xf// 000000008C1C: 06C4C4FA FF00AAB1
	v_subrev_f32_dpp v99, v177, v99 quad_perm:[3,3,3,3] row_mask:0xf bank_mask:0xf// 000000008C24: 06C6C6FA FF00FFB1
	v_mfma_f32_16x16x16_bf16 v[180:183], v[132:133], v[170:171], v[180:183]// 000000008C2C: D3E100B4 06D35584
	v_mul_f32_e32 v88, v64, v88                                // 000000008C34: 0AB0B140
	v_mul_f32_e32 v89, v65, v89                                // 000000008C38: 0AB2B341
	v_mul_f32_e32 v90, v66, v90                                // 000000008C3C: 0AB4B542
	v_mul_f32_e32 v91, v67, v91                                // 000000008C40: 0AB6B743
	v_mul_f32_e32 v92, v68, v92                                // 000000008C44: 0AB8B944
	v_mul_f32_e32 v93, v69, v93                                // 000000008C48: 0ABABB45
	v_mfma_f32_16x16x16_bf16 v[184:187], v[134:135], v[170:171], v[184:187]// 000000008C4C: D3E100B8 06E35586
	v_mul_f32_e32 v94, v70, v94                                // 000000008C54: 0ABCBD46
	v_mul_f32_e32 v95, v71, v95                                // 000000008C58: 0ABEBF47
	v_mul_f32_e32 v96, v72, v96                                // 000000008C5C: 0AC0C148
	v_mul_f32_e32 v97, v73, v97                                // 000000008C60: 0AC2C349
	v_mul_f32_e32 v98, v74, v98                                // 000000008C64: 0AC4C54A
	v_mul_f32_e32 v99, v75, v99                                // 000000008C68: 0AC6C74B
	v_mfma_f32_16x16x16_bf16 v[188:191], v[136:137], v[170:171], v[188:191]// 000000008C6C: D3E100BC 06F35588
	v_cmp_u_f32_e64 s[78:79], v88, v88                         // 000000008C74: D048004E 0002B158
	v_add3_u32 v228, v88, v231, 1                              // 000000008C7C: D1FF00E4 0207CF58
	v_cndmask_b32_e64 v32, v228, v230, s[78:79]                // 000000008C84: D1000020 013BCDE4
	v_cmp_u_f32_e64 s[78:79], v89, v89                         // 000000008C8C: D048004E 0002B359
	v_add3_u32 v228, v89, v231, 1                              // 000000008C94: D1FF00E4 0207CF59
	v_cndmask_b32_e64 v33, v228, v230, s[78:79]                // 000000008C9C: D1000021 013BCDE4
	v_perm_b32 v82, v33, v32, s64                              // 000000008CA4: D1ED0052 01024121
	v_cmp_u_f32_e64 s[78:79], v90, v90                         // 000000008CAC: D048004E 0002B55A
	v_add3_u32 v228, v90, v231, 1                              // 000000008CB4: D1FF00E4 0207CF5A
	v_cndmask_b32_e64 v32, v228, v230, s[78:79]                // 000000008CBC: D1000020 013BCDE4
	v_cmp_u_f32_e64 s[78:79], v91, v91                         // 000000008CC4: D048004E 0002B75B
	v_add3_u32 v228, v91, v231, 1                              // 000000008CCC: D1FF00E4 0207CF5B
	v_cndmask_b32_e64 v33, v228, v230, s[78:79]                // 000000008CD4: D1000021 013BCDE4
	v_perm_b32 v83, v33, v32, s64                              // 000000008CDC: D1ED0053 01024121
	v_cmp_u_f32_e64 s[78:79], v92, v92                         // 000000008CE4: D048004E 0002B95C
	v_add3_u32 v228, v92, v231, 1                              // 000000008CEC: D1FF00E4 0207CF5C
	v_cndmask_b32_e64 v32, v228, v230, s[78:79]                // 000000008CF4: D1000020 013BCDE4
	v_cmp_u_f32_e64 s[78:79], v93, v93                         // 000000008CFC: D048004E 0002BB5D
	v_add3_u32 v228, v93, v231, 1                              // 000000008D04: D1FF00E4 0207CF5D
	v_cndmask_b32_e64 v33, v228, v230, s[78:79]                // 000000008D0C: D1000021 013BCDE4
	v_perm_b32 v84, v33, v32, s64                              // 000000008D14: D1ED0054 01024121
	v_cmp_u_f32_e64 s[78:79], v94, v94                         // 000000008D1C: D048004E 0002BD5E
	v_add3_u32 v228, v94, v231, 1                              // 000000008D24: D1FF00E4 0207CF5E
	v_cndmask_b32_e64 v32, v228, v230, s[78:79]                // 000000008D2C: D1000020 013BCDE4
	v_cmp_u_f32_e64 s[78:79], v95, v95                         // 000000008D34: D048004E 0002BF5F
	v_add3_u32 v228, v95, v231, 1                              // 000000008D3C: D1FF00E4 0207CF5F
	v_cndmask_b32_e64 v33, v228, v230, s[78:79]                // 000000008D44: D1000021 013BCDE4
	v_perm_b32 v85, v33, v32, s64                              // 000000008D4C: D1ED0055 01024121
	v_cmp_u_f32_e64 s[78:79], v96, v96                         // 000000008D54: D048004E 0002C160
	v_add3_u32 v228, v96, v231, 1                              // 000000008D5C: D1FF00E4 0207CF60
	v_cndmask_b32_e64 v32, v228, v230, s[78:79]                // 000000008D64: D1000020 013BCDE4
	v_cmp_u_f32_e64 s[78:79], v97, v97                         // 000000008D6C: D048004E 0002C361
	v_add3_u32 v228, v97, v231, 1                              // 000000008D74: D1FF00E4 0207CF61
	v_cndmask_b32_e64 v33, v228, v230, s[78:79]                // 000000008D7C: D1000021 013BCDE4
	v_perm_b32 v86, v33, v32, s64                              // 000000008D84: D1ED0056 01024121
	v_cmp_u_f32_e64 s[78:79], v98, v98                         // 000000008D8C: D048004E 0002C562
	v_add3_u32 v228, v98, v231, 1                              // 000000008D94: D1FF00E4 0207CF62
	v_cndmask_b32_e64 v32, v228, v230, s[78:79]                // 000000008D9C: D1000020 013BCDE4
	v_cmp_u_f32_e64 s[78:79], v99, v99                         // 000000008DA4: D048004E 0002C763
	v_add3_u32 v228, v99, v231, 1                              // 000000008DAC: D1FF00E4 0207CF63
	v_cndmask_b32_e64 v33, v228, v230, s[78:79]                // 000000008DB4: D1000021 013BCDE4
	v_perm_b32 v87, v33, v32, s64                              // 000000008DBC: D1ED0057 01024121
	v_mfma_f32_16x16x16_bf16 v[192:195], v[138:139], v[170:171], v[192:195]// 000000008DC4: D3E100C0 0703558A
	v_mov_b32_dpp v18, v82 quad_perm:[1,0,3,2] row_mask:0xf bank_mask:0xf// 000000008DCC: 7E2402FA FF00B152
	v_perm_b32 v58, v18, v82, v17                              // 000000008DD4: D1ED003A 0446A512
	v_mov_b32_dpp v18, v83 quad_perm:[1,0,3,2] row_mask:0xf bank_mask:0xf// 000000008DDC: 7E2402FA FF00B153
	v_perm_b32 v59, v18, v83, v17                              // 000000008DE4: D1ED003B 0446A712
	v_mov_b32_dpp v18, v84 quad_perm:[1,0,3,2] row_mask:0xf bank_mask:0xf// 000000008DEC: 7E2402FA FF00B154
	v_perm_b32 v60, v18, v84, v17                              // 000000008DF4: D1ED003C 0446A912
	v_mfma_f32_16x16x16_bf16 v[196:199], v[132:133], v[172:173], v[196:199]// 000000008DFC: D3E100C4 07135984
	ds_write_b32 v20, v58 offset:24320                         // 000000008E04: D81A5F00 00003A14
	ds_write_b32 v20, v59 offset:24864                         // 000000008E0C: D81A6120 00003B14
	v_mfma_f32_16x16x16_bf16 v[200:203], v[134:135], v[172:173], v[200:203]// 000000008E14: D3E100C8 07235986
	v_mov_b32_dpp v18, v85 quad_perm:[1,0,3,2] row_mask:0xf bank_mask:0xf// 000000008E1C: 7E2402FA FF00B155
	v_perm_b32 v61, v18, v85, v17                              // 000000008E24: D1ED003D 0446AB12
	v_mov_b32_dpp v18, v86 quad_perm:[1,0,3,2] row_mask:0xf bank_mask:0xf// 000000008E2C: 7E2402FA FF00B156
	v_perm_b32 v62, v18, v86, v17                              // 000000008E34: D1ED003E 0446AD12
	v_mov_b32_dpp v18, v87 quad_perm:[1,0,3,2] row_mask:0xf bank_mask:0xf// 000000008E3C: 7E2402FA FF00B157
	v_perm_b32 v63, v18, v87, v17                              // 000000008E44: D1ED003F 0446AF12
	v_mfma_f32_16x16x16_bf16 v[204:207], v[136:137], v[172:173], v[204:207]// 000000008E4C: D3E100CC 07335988
	ds_write_b32 v20, v60 offset:26624                         // 000000008E54: D81A6800 00003C14
	ds_write_b32 v20, v61 offset:27168                         // 000000008E5C: D81A6A20 00003D14
	ds_write_b32 v20, v62 offset:28928                         // 000000008E64: D81A7100 00003E14
	ds_write_b32 v20, v63 offset:29472                         // 000000008E6C: D81A7320 00003F14
	v_mfma_f32_16x16x16_bf16 v[208:211], v[138:139], v[172:173], v[208:211]// 000000008E74: D3E100D0 0743598A
	v_mfma_f32_16x16x16_bf16 v[212:215], v[132:133], v[174:175], v[212:215]// 000000008E7C: D3E100D4 07535D84
	ds_write_b32 v15, v100 offset:4352                         // 000000008E84: D81A1100 0000640F
	ds_write_b32 v15, v101 offset:5408                         // 000000008E8C: D81A1520 0000650F
	v_mfma_f32_16x16x16_bf16 v[216:219], v[134:135], v[174:175], v[216:219]// 000000008E94: D3E100D8 07635D86
	v_mfma_f32_16x16x16_bf16 v[220:223], v[136:137], v[174:175], v[220:223]// 000000008E9C: D3E100DC 07735D88
	ds_write_b32 v15, v102 offset:6528                         // 000000008EA4: D81A1980 0000660F
	ds_write_b32 v15, v103 offset:7584                         // 000000008EAC: D81A1DA0 0000670F
	v_mfma_f32_16x16x16_bf16 v[224:227], v[138:139], v[174:175], v[224:227]// 000000008EB4: D3E100E0 07835D8A
	s_nop 0                                                    // 000000008EBC: BF800000
	s_nop 0                                                    // 000000008EC0: BF800000
	s_nop 0                                                    // 000000008EC4: BF800000
	s_barrier                                                  // 000000008EC8: BF8A0000
	v_mfma_f32_16x16x16_bf16 a[112:115], a[96:97], v[76:77], a[112:115]// 000000008ECC: D3E18070 0DC29960
	ds_read_b32 v140, v23 offset:39936                         // 000000008ED4: D86C9C00 8C000017
	ds_read_b32 v144, v23 offset:40000                         // 000000008EDC: D86C9C40 90000017
	ds_read_b32 v176, v23 offset:40192                         // 000000008EE4: D86C9D00 B0000017
	ds_read_b32 v177, v23 offset:40256                         // 000000008EEC: D86C9D40 B1000017
	v_mfma_f32_16x16x16_bf16 a[116:119], a[98:99], v[76:77], a[116:119]// 000000008EF4: D3E18074 0DD29962
	buffer_atomic_add_f32 v156, v6, s[32:35], 0 idxen          // 000000008EFC: E1342000 80089C06
	v_mfma_f32_16x16x16_bf16 a[120:123], a[100:101], v[76:77], a[120:123]// 000000008F04: D3E18078 0DE29964
	s_waitcnt lgkmcnt(8)                                       // 000000008F0C: BF8CC87F
	s_barrier                                                  // 000000008F10: BF8A0000
	v_mfma_f32_16x16x16_bf16 a[124:127], a[102:103], v[76:77], a[124:127]// 000000008F14: D3E1807C 0DF29966
	v_mfma_f32_16x16x16_bf16 a[128:131], a[96:97], v[78:79], a[128:131]// 000000008F1C: D3E18080 0E029D60
	ds_read_b128 v[52:55], v19 offset:17408                    // 000000008F24: D9FE4400 34000013
	v_mfma_f32_16x16x16_bf16 a[132:135], a[98:99], v[78:79], a[132:135]// 000000008F2C: D3E18084 0E129D62
	v_mfma_f32_16x16x16_bf16 a[136:139], a[100:101], v[78:79], a[136:139]// 000000008F34: D3E18088 0E229D64
	ds_read_b128 v[56:59], v19 offset:18560                    // 000000008F3C: D9FE4880 38000013
	v_mfma_f32_16x16x16_bf16 a[140:143], a[102:103], v[78:79], a[140:143]// 000000008F44: D3E1808C 0E329D66
	buffer_atomic_add_f32 v157, v7, s[32:35], 0 idxen          // 000000008F4C: E1342000 80089D07
	v_mfma_f32_16x16x16_bf16 a[144:147], a[96:97], v[80:81], a[144:147]// 000000008F54: D3E18090 0E42A160
	ds_read_b128 v[60:63], v19 offset:19712                    // 000000008F5C: D9FE4D00 3C000013
	v_mfma_f32_16x16x16_bf16 a[148:151], a[98:99], v[80:81], a[148:151]// 000000008F64: D3E18094 0E52A162
	v_mfma_f32_16x16x16_bf16 a[152:155], a[100:101], v[80:81], a[152:155]// 000000008F6C: D3E18098 0E62A164
	ds_read_b128 v[64:67], v19 offset:20864                    // 000000008F74: D9FE5180 40000013
	v_mfma_f32_16x16x16_bf16 a[156:159], a[102:103], v[80:81], a[156:159]// 000000008F7C: D3E1809C 0E72A166
	v_mfma_f32_16x16x16_bf16 a[112:115], a[104:105], v[82:83], a[112:115]// 000000008F84: D3E18070 0DC2A568
	ds_read_b128 v[68:71], v19 offset:22016                    // 000000008F8C: D9FE5600 44000013
	v_mfma_f32_16x16x16_bf16 a[116:119], a[106:107], v[82:83], a[116:119]// 000000008F94: D3E18074 0DD2A56A
	buffer_atomic_add_f32 v158, v6, s[32:35], 0 idxen offset:128// 000000008F9C: E1342080 80089E06
	v_mfma_f32_16x16x16_bf16 a[120:123], a[108:109], v[82:83], a[120:123]// 000000008FA4: D3E18078 0DE2A56C
	ds_read_b128 v[72:75], v19 offset:23168                    // 000000008FAC: D9FE5A80 48000013
	v_mfma_f32_16x16x16_bf16 a[124:127], a[110:111], v[82:83], a[124:127]// 000000008FB4: D3E1807C 0DF2A56E
	v_mfma_f32_16x16x16_bf16 a[128:131], a[104:105], v[84:85], a[128:131]// 000000008FBC: D3E18080 0E02A968
	ds_write_b32 v15, v104 offset:13056                        // 000000008FC4: D81A3300 0000680F
	v_mfma_f32_16x16x16_bf16 a[132:135], a[106:107], v[84:85], a[132:135]// 000000008FCC: D3E18084 0E12A96A
	v_mfma_f32_16x16x16_bf16 a[136:139], a[108:109], v[84:85], a[136:139]// 000000008FD4: D3E18088 0E22A96C
	ds_write_b32 v15, v105 offset:14112                        // 000000008FDC: D81A3720 0000690F
	v_mfma_f32_16x16x16_bf16 a[140:143], a[110:111], v[84:85], a[140:143]// 000000008FE4: D3E1808C 0E32A96E
	buffer_atomic_add_f32 v159, v7, s[32:35], 0 idxen offset:128// 000000008FEC: E1342080 80089F07
	v_mfma_f32_16x16x16_bf16 a[144:147], a[104:105], v[86:87], a[144:147]// 000000008FF4: D3E18090 0E42AD68
	ds_write_b32 v15, v106 offset:15232                        // 000000008FFC: D81A3B80 00006A0F
	v_mfma_f32_16x16x16_bf16 a[148:151], a[106:107], v[86:87], a[148:151]// 000000009004: D3E18094 0E52AD6A
	v_mfma_f32_16x16x16_bf16 a[152:155], a[108:109], v[86:87], a[152:155]// 00000000900C: D3E18098 0E62AD6C
	ds_write_b32 v15, v107 offset:16288                        // 000000009014: D81A3FA0 00006B0F
	v_mfma_f32_16x16x16_bf16 a[156:159], a[110:111], v[86:87], a[156:159]// 00000000901C: D3E1809C 0E72AD6E
	s_waitcnt vmcnt(8) lgkmcnt(4)                              // 000000009024: BF8C0478
	s_barrier                                                  // 000000009028: BF8A0000
	v_mfma_f32_16x16x16_bf16 v[148:151], v[52:53], a[24:25], 0 // 00000000902C: D3E10094 12023134
	ds_read_b128 a[96:99], v12                                 // 000000009034: DBFE0000 6000000C
	buffer_load_dword v40, v1, s[8:11], 0 idxen                // 00000000903C: E0502000 80022801
	v_mfma_f32_16x16x16_bf16 v[148:151], v[54:55], a[28:29], v[148:151]// 000000009044: D3E10094 16523936
	v_mul_f32_e32 v140, s48, v140                              // 00000000904C: 0B191830
	v_mul_f32_e32 v144, s48, v144                              // 000000009050: 0B212030
	s_nop 0                                                    // 000000009054: BF800000
	v_mfma_f32_16x16x16_bf16 v[148:151], v[56:57], a[32:33], v[148:151]// 000000009058: D3E10094 16524138
	ds_read_b128 a[100:103], v12 offset:512                    // 000000009060: DBFE0200 6400000C
	buffer_load_dword v41, v2, s[8:11], 0 idxen                // 000000009068: E0502000 80022902
	v_mfma_f32_16x16x16_bf16 v[148:151], v[58:59], a[36:37], v[148:151]// 000000009070: D3E10094 1652493A
	v_mfma_f32_16x16x16_bf16 v[148:151], v[60:61], a[40:41], v[148:151]// 000000009078: D3E10094 1652513C
	ds_read_b128 a[104:107], v12 offset:2176                   // 000000009080: DBFE0880 6800000C
	buffer_load_dword v42, v3, s[8:11], 0 idxen                // 000000009088: E0502000 80022A03
	v_mfma_f32_16x16x16_bf16 v[148:151], v[62:63], a[44:45], v[148:151]// 000000009090: D3E10094 1652593E
	v_perm_b32 v100, v37, v36, s63                             // 000000009098: D1ED0064 00FE4925
	v_perm_b32 v101, v37, v36, s64                             // 0000000090A0: D1ED0065 01024925
	v_mfma_f32_16x16x16_bf16 v[148:151], v[64:65], a[48:49], v[148:151]// 0000000090A8: D3E10094 16526140
	ds_read_b128 a[108:111], v12 offset:2688                   // 0000000090B0: DBFE0A80 6C00000C
	buffer_load_dword v43, v4, s[8:11], 0 idxen                // 0000000090B8: E0502000 80022B04
	v_mfma_f32_16x16x16_bf16 v[148:151], v[66:67], a[52:53], v[148:151]// 0000000090C0: D3E10094 16526942
	v_perm_b32 v102, v39, v38, s63                             // 0000000090C8: D1ED0066 00FE4D27
	v_perm_b32 v103, v39, v38, s64                             // 0000000090D0: D1ED0067 01024D27
	v_mfma_f32_16x16x16_bf16 v[148:151], v[68:69], a[56:57], v[148:151]// 0000000090D8: D3E10094 16527144
	ds_read_b128 v[108:111], v12 offset:8704                   // 0000000090E0: D9FE2200 6C00000C
	buffer_load_dword v48, v232, s[20:23], 0 idxen             // 0000000090E8: E0502000 800530E8
	v_mfma_f32_16x16x16_bf16 v[148:151], v[70:71], a[60:61], v[148:151]// 0000000090F0: D3E10094 16527946
	v_perm_b32 v104, v45, v44, s63                             // 0000000090F8: D1ED0068 00FE592D
	v_perm_b32 v105, v45, v44, s64                             // 000000009100: D1ED0069 0102592D
	v_mfma_f32_16x16x16_bf16 v[148:151], v[72:73], a[64:65], v[148:151]// 000000009108: D3E10094 16528148
	ds_read_b128 v[112:115], v12 offset:9216                   // 000000009110: D9FE2400 7000000C
	buffer_load_dword v49, v233, s[20:23], 0 idxen             // 000000009118: E0502000 800531E9
	v_mfma_f32_16x16x16_bf16 v[148:151], v[74:75], a[68:69], v[148:151]// 000000009120: D3E10094 1652894A
	v_perm_b32 v106, v47, v46, s63                             // 000000009128: D1ED006A 00FE5D2F
	v_perm_b32 v107, v47, v46, s64                             // 000000009130: D1ED006B 01025D2F
	v_mfma_f32_16x16x16_bf16 v[152:155], v[52:53], a[26:27], 0 // 000000009138: D3E10098 12023534
	ds_read_b128 v[116:119], v12 offset:10880                  // 000000009140: D9FE2A80 7400000C
	buffer_load_dword v50, v234, s[20:23], 0 idxen             // 000000009148: E0502000 800532EA
	v_mfma_f32_16x16x16_bf16 v[152:155], v[54:55], a[30:31], v[152:155]// 000000009150: D3E10098 16623D36
	v_mov_b32_dpp v143, v140 quad_perm:[3,3,3,3] row_mask:0xf bank_mask:0xf// 000000009158: 7F1E02FA FF00FF8C
	v_mov_b32_dpp v142, v140 quad_perm:[2,2,2,2] row_mask:0xf bank_mask:0xf// 000000009160: 7F1C02FA FF00AA8C
	v_mov_b32_dpp v141, v140 quad_perm:[1,1,1,1] row_mask:0xf bank_mask:0xf// 000000009168: 7F1A02FA FF00558C
	v_mov_b32_dpp v140, v140 quad_perm:[0,0,0,0] row_mask:0xf bank_mask:0xf// 000000009170: 7F1802FA FF00008C
	v_mfma_f32_16x16x16_bf16 v[152:155], v[56:57], a[34:35], v[152:155]// 000000009178: D3E10098 16624538
	ds_read_b128 v[120:123], v12 offset:11392                  // 000000009180: D9FE2C80 7800000C
	buffer_load_dword v51, v235, s[20:23], 0 idxen             // 000000009188: E0502000 800533EB
	v_mfma_f32_16x16x16_bf16 v[152:155], v[58:59], a[38:39], v[152:155]// 000000009190: D3E10098 16624D3A
	v_mov_b32_dpp v147, v144 quad_perm:[3,3,3,3] row_mask:0xf bank_mask:0xf// 000000009198: 7F2602FA FF00FF90
	v_mov_b32_dpp v146, v144 quad_perm:[2,2,2,2] row_mask:0xf bank_mask:0xf// 0000000091A0: 7F2402FA FF00AA90
	v_mov_b32_dpp v145, v144 quad_perm:[1,1,1,1] row_mask:0xf bank_mask:0xf// 0000000091A8: 7F2202FA FF005590
	v_mov_b32_dpp v144, v144 quad_perm:[0,0,0,0] row_mask:0xf bank_mask:0xf// 0000000091B0: 7F2002FA FF000090
	s_add_u32 s60, 0x80, s59                                   // 0000000091B8: 803C3BFF 00000080
	v_mfma_f32_16x16x16_bf16 v[152:155], v[60:61], a[42:43], v[152:155]// 0000000091C0: D3E10098 1662553C
	buffer_load_dword v11, s[24:27], 0 idxen lds               // 0000000091C8: E0512000 8006000B
	v_mfma_f32_16x16x16_bf16 v[152:155], v[62:63], a[46:47], v[152:155]// 0000000091D0: D3E10098 16625D3E
	s_cmp_lt_u32 s60, s58                                      // 0000000091D8: BF0A3A3C
	s_cselect_b32 s68, s68, 0                                  // 0000000091DC: 85448044
	s_cselect_b32 s99, s99, 0                                  // 0000000091E0: 85638063
	s_cselect_b32 s69, s69, 0                                  // 0000000091E4: 85458045
	v_mfma_f32_16x16x16_bf16 v[152:155], v[64:65], a[50:51], v[152:155]// 0000000091E8: D3E10098 16626540
	v_add_u32_e32 v1, s68, v1                                  // 0000000091F0: 68020244
	v_add_u32_e32 v2, s68, v2                                  // 0000000091F4: 68040444
	v_add_u32_e32 v3, s68, v3                                  // 0000000091F8: 68060644
	v_add_u32_e32 v4, s68, v4                                  // 0000000091FC: 68080844
	v_mfma_f32_16x16x16_bf16 v[152:155], v[66:67], a[54:55], v[152:155]// 000000009200: D3E10098 16626D42
	v_add_u32_e32 v232, s99, v232                              // 000000009208: 69D1D063
	v_add_u32_e32 v233, s99, v233                              // 00000000920C: 69D3D263
	v_add_u32_e32 v234, s99, v234                              // 000000009210: 69D5D463
	v_add_u32_e32 v235, s99, v235                              // 000000009214: 69D7D663
	v_mfma_f32_16x16x16_bf16 v[152:155], v[68:69], a[58:59], v[152:155]// 000000009218: D3E10098 16627544
	s_mov_b32 m0, s80                                          // 000000009220: BEFC0050
	v_add_u32_e32 v11, s69, v11                                // 000000009224: 68161645
	v_mfma_f32_16x16x16_bf16 v[152:155], v[70:71], a[62:63], v[152:155]// 000000009228: D3E10098 16627D46
	s_cmp_ge_u32 s59, s73                                      // 000000009230: BF09493B
	s_cselect_b32 s66, s67, s66                                // 000000009234: 85424243
	v_mfma_f32_16x16x16_bf16 v[152:155], v[72:73], a[66:67], v[152:155]// 000000009238: D3E10098 16628548
	s_addk_i32 s59, 0x20                                       // 000000009240: B73B0020
	s_nop 0                                                    // 000000009244: BF800000
	s_cmp_lt_i32 s59, s58                                      // 000000009248: BF043A3B
	v_mfma_f32_16x16x16_bf16 v[152:155], v[74:75], a[70:71], v[152:155]// 00000000924C: D3E10098 16628D4A
	s_cbranch_scc0 label_1041                                  // 000000009254: BF84FB19
	s_waitcnt lgkmcnt(0)                                       // 000000009258: BF8CC07F
	s_barrier                                                  // 00000000925C: BF8A0000
	v_mfma_f32_16x16x16_bf16 v[52:55], a[96:97], a[0:1], 0     // 000000009260: D3E10034 1A020160
	v_mul_f32_e32 v148, s47, v148                              // 000000009268: 0B29282F
	v_mul_f32_e32 v149, s47, v149                              // 00000000926C: 0B2B2A2F
	v_mfma_f32_16x16x16_bf16 v[52:55], a[98:99], a[2:3], v[52:55]// 000000009270: D3E10034 1CD20562
	ds_write_b32 v13, v44 offset:8704                          // 000000009278: D81A2200 00002C0D
	ds_write_b32 v13, v45 offset:9760                          // 000000009280: D81A2620 00002D0D
	v_mfma_f32_16x16x16_bf16 v[52:55], a[100:101], a[4:5], v[52:55]// 000000009288: D3E10034 1CD20964
	v_mul_f32_e32 v150, s47, v150                              // 000000009290: 0B2D2C2F
	v_mul_f32_e32 v151, s47, v151                              // 000000009294: 0B2F2E2F
	v_mfma_f32_16x16x16_bf16 v[52:55], a[102:103], a[6:7], v[52:55]// 000000009298: D3E10034 1CD20D66
	ds_write_b32 v13, v46 offset:10880                         // 0000000092A0: D81A2A80 00002E0D
	ds_write_b32 v13, v47 offset:11936                         // 0000000092A8: D81A2EA0 00002F0D
	v_mfma_f32_16x16x16_bf16 v[56:59], a[96:97], a[8:9], 0     // 0000000092B0: D3E10038 1A021160
	v_mul_f32_e32 v152, s47, v152                              // 0000000092B8: 0B31302F
	v_mul_f32_e32 v153, s47, v153                              // 0000000092BC: 0B33322F
	v_mfma_f32_16x16x16_bf16 v[56:59], a[98:99], a[10:11], v[56:59]// 0000000092C0: D3E10038 1CE21562
	ds_write_b64 v22, v[148:149] offset:31232                  // 0000000092C8: D89A7A00 00009416
	v_mfma_f32_16x16x16_bf16 v[56:59], a[100:101], a[12:13], v[56:59]// 0000000092D0: D3E10038 1CE21964
	v_mul_f32_e32 v154, s47, v154                              // 0000000092D8: 0B35342F
	v_mul_f32_e32 v155, s47, v155                              // 0000000092DC: 0B37362F
	v_mfma_f32_16x16x16_bf16 v[56:59], a[102:103], a[14:15], v[56:59]// 0000000092E0: D3E10038 1CE21D66
	ds_write_b64 v22, v[150:151] offset:31744                  // 0000000092E8: D89A7C00 00009616
	v_mfma_f32_16x16x16_bf16 v[60:63], a[96:97], a[16:17], 0   // 0000000092F0: D3E1003C 1A022160
	buffer_atomic_add_f32 v160, v8, s[32:35], 0 idxen          // 0000000092F8: E1342000 8008A008
	v_mfma_f32_16x16x16_bf16 v[60:63], a[98:99], a[18:19], v[60:63]// 000000009300: D3E1003C 1CF22562
	ds_write_b64 v22, v[152:153] offset:32256                  // 000000009308: D89A7E00 00009816
	v_mfma_f32_16x16x16_bf16 v[60:63], a[100:101], a[20:21], v[60:63]// 000000009310: D3E1003C 1CF22964
	v_mfma_f32_16x16x16_bf16 v[60:63], a[102:103], a[22:23], v[60:63]// 000000009318: D3E1003C 1CF22D66
	ds_write_b64 v22, v[154:155] offset:32768                  // 000000009320: D89A8000 00009A16
	v_mfma_f32_16x16x16_bf16 v[64:67], a[104:105], a[0:1], 0   // 000000009328: D3E10040 1A020168
	buffer_atomic_add_f32 v161, v9, s[32:35], 0 idxen          // 000000009330: E1342000 8008A109
	v_mfma_f32_16x16x16_bf16 v[64:67], a[106:107], a[2:3], v[64:67]// 000000009338: D3E10040 1D02056A
	ds_read_b128 v[124:127], v14 offset:13056                  // 000000009340: D9FE3300 7C00000E
	ds_write_b32 v13, v36                                      // 000000009348: D81A0000 0000240D
	v_mfma_f32_16x16x16_bf16 v[64:67], a[108:109], a[4:5], v[64:67]// 000000009350: D3E10040 1D02096C
	v_mfma_f32_16x16x16_bf16 v[64:67], a[110:111], a[6:7], v[64:67]// 000000009358: D3E10040 1D020D6E
	v_mfma_f32_16x16x16_bf16 v[68:71], a[104:105], a[8:9], 0   // 000000009360: D3E10044 1A021168
	ds_read_b128 v[128:131], v14 offset:13568                  // 000000009368: D9FE3500 8000000E
	ds_write_b32 v13, v37 offset:1056                          // 000000009370: D81A0420 0000250D
	v_mfma_f32_16x16x16_bf16 v[68:71], a[106:107], a[10:11], v[68:71]// 000000009378: D3E10044 1D12156A
	buffer_atomic_add_f32 v162, v8, s[32:35], 0 idxen offset:128// 000000009380: E1342080 8008A208
	v_mfma_f32_16x16x16_bf16 v[68:71], a[108:109], a[12:13], v[68:71]// 000000009388: D3E10044 1D12196C
	v_mfma_f32_16x16x16_bf16 v[68:71], a[110:111], a[14:15], v[68:71]// 000000009390: D3E10044 1D121D6E
	ds_read_b128 v[132:135], v14 offset:15232                  // 000000009398: D9FE3B80 8400000E
	ds_write_b32 v13, v38 offset:2176                          // 0000000093A0: D81A0880 0000260D
	v_mfma_f32_16x16x16_bf16 v[72:75], a[104:105], a[16:17], 0 // 0000000093A8: D3E10048 1A022168
	v_mfma_f32_16x16x16_bf16 v[72:75], a[106:107], a[18:19], v[72:75]// 0000000093B0: D3E10048 1D22256A
	buffer_atomic_add_f32 v163, v9, s[32:35], 0 idxen offset:128// 0000000093B8: E1342080 8008A309
	v_mfma_f32_16x16x16_bf16 v[72:75], a[108:109], a[20:21], v[72:75]// 0000000093C0: D3E10048 1D22296C
	ds_read_b128 v[136:139], v14 offset:15744                  // 0000000093C8: D9FE3D80 8800000E
	ds_write_b32 v13, v39 offset:3232                          // 0000000093D0: D81A0CA0 0000270D
	v_mfma_f32_16x16x16_bf16 v[72:75], a[110:111], a[22:23], v[72:75]// 0000000093D8: D3E10048 1D222D6E
	s_cmp_eq_i32 s94, 0                                        // 0000000093E0: BF00805E
	s_cbranch_scc1 label_168E                                  // 0000000093E4: BF8500F0
	s_cmp_lt_i32 s74, 6                                        // 0000000093E8: BF04864A
	s_cbranch_scc0 label_1615                                  // 0000000093EC: BF84007E
	s_lshl_b32 s60, s74, 5                                     // 0000000093F0: 8E3C854A
	s_lshl_b32 s61, 0, 4                                       // 0000000093F4: 8E3D8480
	s_add_i32 s60, s60, s61                                    // 0000000093F8: 813C3D3C
	v_sub_i32 v32, v236, s60                                   // 0000000093FC: D29D0020 000079EC
	s_mov_b32 s61, 0                                           // 000000009404: BEBD0080
	v_add_i32 v33, v32, s61                                    // 000000009408: D29C0021 00007B20
	v_cmp_gt_i32_e64 s[90:91], v33, 0                          // 000000009410: D0C4005A 00010121
	v_cmp_gt_i32_e64 s[92:93], v33, 1                          // 000000009418: D0C4005C 00010321
	v_cndmask_b32_e64 v52, v52, v178, s[90:91]                 // 000000009420: D1000034 016B6534
	v_cndmask_b32_e64 v53, v53, v178, s[92:93]                 // 000000009428: D1000035 01736535
	v_cmp_gt_i32_e64 s[90:91], v33, 2                          // 000000009430: D0C4005A 00010521
	v_cmp_gt_i32_e64 s[92:93], v33, 3                          // 000000009438: D0C4005C 00010721
	v_cndmask_b32_e64 v54, v54, v178, s[90:91]                 // 000000009440: D1000036 016B6536
	v_cndmask_b32_e64 v55, v55, v178, s[92:93]                 // 000000009448: D1000037 01736537
	s_mov_b32 s61, 64                                          // 000000009450: BEBD00C0
	v_add_i32 v33, v32, s61                                    // 000000009454: D29C0021 00007B20
	v_cmp_gt_i32_e64 s[90:91], v33, 0                          // 00000000945C: D0C4005A 00010121
	v_cmp_gt_i32_e64 s[92:93], v33, 1                          // 000000009464: D0C4005C 00010321
	v_cndmask_b32_e64 v56, v56, v178, s[90:91]                 // 00000000946C: D1000038 016B6538
	v_cndmask_b32_e64 v57, v57, v178, s[92:93]                 // 000000009474: D1000039 01736539
	v_cmp_gt_i32_e64 s[90:91], v33, 2                          // 00000000947C: D0C4005A 00010521
	v_cmp_gt_i32_e64 s[92:93], v33, 3                          // 000000009484: D0C4005C 00010721
	v_cndmask_b32_e64 v58, v58, v178, s[90:91]                 // 00000000948C: D100003A 016B653A
	v_cndmask_b32_e64 v59, v59, v178, s[92:93]                 // 000000009494: D100003B 0173653B
	s_mov_b32 s61, 0x80                                        // 00000000949C: BEBD00FF 00000080
	v_add_i32 v33, v32, s61                                    // 0000000094A4: D29C0021 00007B20
	v_cmp_gt_i32_e64 s[90:91], v33, 0                          // 0000000094AC: D0C4005A 00010121
	v_cmp_gt_i32_e64 s[92:93], v33, 1                          // 0000000094B4: D0C4005C 00010321
	v_cndmask_b32_e64 v60, v60, v178, s[90:91]                 // 0000000094BC: D100003C 016B653C
	v_cndmask_b32_e64 v61, v61, v178, s[92:93]                 // 0000000094C4: D100003D 0173653D
	v_cmp_gt_i32_e64 s[90:91], v33, 2                          // 0000000094CC: D0C4005A 00010521
	v_cmp_gt_i32_e64 s[92:93], v33, 3                          // 0000000094D4: D0C4005C 00010721
	v_cndmask_b32_e64 v62, v62, v178, s[90:91]                 // 0000000094DC: D100003E 016B653E
	v_cndmask_b32_e64 v63, v63, v178, s[92:93]                 // 0000000094E4: D100003F 0173653F
	s_lshl_b32 s60, s74, 5                                     // 0000000094EC: 8E3C854A
	s_lshl_b32 s61, 1, 4                                       // 0000000094F0: 8E3D8481
	s_add_i32 s60, s60, s61                                    // 0000000094F4: 813C3D3C
	v_sub_i32 v32, v236, s60                                   // 0000000094F8: D29D0020 000079EC
	s_mov_b32 s61, 0                                           // 000000009500: BEBD0080
	v_add_i32 v33, v32, s61                                    // 000000009504: D29C0021 00007B20
	v_cmp_gt_i32_e64 s[90:91], v33, 0                          // 00000000950C: D0C4005A 00010121
	v_cmp_gt_i32_e64 s[92:93], v33, 1                          // 000000009514: D0C4005C 00010321
	v_cndmask_b32_e64 v64, v64, v178, s[90:91]                 // 00000000951C: D1000040 016B6540
	v_cndmask_b32_e64 v65, v65, v178, s[92:93]                 // 000000009524: D1000041 01736541
	v_cmp_gt_i32_e64 s[90:91], v33, 2                          // 00000000952C: D0C4005A 00010521
	v_cmp_gt_i32_e64 s[92:93], v33, 3                          // 000000009534: D0C4005C 00010721
	v_cndmask_b32_e64 v66, v66, v178, s[90:91]                 // 00000000953C: D1000042 016B6542
	v_cndmask_b32_e64 v67, v67, v178, s[92:93]                 // 000000009544: D1000043 01736543
	s_mov_b32 s61, 64                                          // 00000000954C: BEBD00C0
	v_add_i32 v33, v32, s61                                    // 000000009550: D29C0021 00007B20
	v_cmp_gt_i32_e64 s[90:91], v33, 0                          // 000000009558: D0C4005A 00010121
	v_cmp_gt_i32_e64 s[92:93], v33, 1                          // 000000009560: D0C4005C 00010321
	v_cndmask_b32_e64 v68, v68, v178, s[90:91]                 // 000000009568: D1000044 016B6544
	v_cndmask_b32_e64 v69, v69, v178, s[92:93]                 // 000000009570: D1000045 01736545
	v_cmp_gt_i32_e64 s[90:91], v33, 2                          // 000000009578: D0C4005A 00010521
	v_cmp_gt_i32_e64 s[92:93], v33, 3                          // 000000009580: D0C4005C 00010721
	v_cndmask_b32_e64 v70, v70, v178, s[90:91]                 // 000000009588: D1000046 016B6546
	v_cndmask_b32_e64 v71, v71, v178, s[92:93]                 // 000000009590: D1000047 01736547
	s_mov_b32 s61, 0x80                                        // 000000009598: BEBD00FF 00000080
	v_add_i32 v33, v32, s61                                    // 0000000095A0: D29C0021 00007B20
	v_cmp_gt_i32_e64 s[90:91], v33, 0                          // 0000000095A8: D0C4005A 00010121
	v_cmp_gt_i32_e64 s[92:93], v33, 1                          // 0000000095B0: D0C4005C 00010321
	v_cndmask_b32_e64 v72, v72, v178, s[90:91]                 // 0000000095B8: D1000048 016B6548
	v_cndmask_b32_e64 v73, v73, v178, s[92:93]                 // 0000000095C0: D1000049 01736549
	v_cmp_gt_i32_e64 s[90:91], v33, 2                          // 0000000095C8: D0C4005A 00010521
	v_cmp_gt_i32_e64 s[92:93], v33, 3                          // 0000000095D0: D0C4005C 00010721
	v_cndmask_b32_e64 v74, v74, v178, s[90:91]                 // 0000000095D8: D100004A 016B654A
	v_cndmask_b32_e64 v75, v75, v178, s[92:93]                 // 0000000095E0: D100004B 0173654B

00000000000095e8 <label_1615>:
	s_cmp_lt_i32 s101, 0xc0                                    // 0000000095E8: BF04FF65 000000C0
	s_cbranch_scc0 label_168E                                  // 0000000095F0: BF84006D
	s_cmp_le_i32 s101, 64                                      // 0000000095F4: BF05C065
	s_cbranch_scc1 label_1621                                  // 0000000095F8: BF850007
	s_cmp_le_i32 s101, 0x80                                    // 0000000095FC: BF05FF65 00000080
	s_cbranch_scc1 label_1645                                  // 000000009604: BF85001F
	s_cmp_lt_i32 s101, 0xc0                                    // 000000009608: BF04FF65 000000C0
	s_cbranch_scc1 label_1669                                  // 000000009610: BF850040
	s_branch label_168E                                        // 000000009614: BF820064

0000000000009618 <label_1621>:
	s_mov_b32 s60, 0                                           // 000000009618: BEBC0080
	v_and_b32_e32 v32, 15, v0                                  // 00000000961C: 2640008F
	v_add_u32_e64 v32, v32, s60                                // 000000009620: D1340020 00007920
	v_mul_i32_i24_e64 v33, s46, 16                             // 000000009628: D1060021 0001202E
	v_add_u32_e32 v32, v32, v33                                // 000000009630: 68404320
	v_cmp_lt_u32_e64 s[60:61], v32, s101                       // 000000009634: D0C9003C 0000CB20
	s_nop 1                                                    // 00000000963C: BF800001
	v_cndmask_b32_e64 v52, v178, v52, s[60:61]                 // 000000009640: D1000034 00F269B2
	v_cndmask_b32_e64 v64, v178, v64, s[60:61]                 // 000000009648: D1000040 00F281B2
	v_cndmask_b32_e64 v53, v178, v53, s[60:61]                 // 000000009650: D1000035 00F26BB2
	v_cndmask_b32_e64 v65, v178, v65, s[60:61]                 // 000000009658: D1000041 00F283B2
	v_cndmask_b32_e64 v54, v178, v54, s[60:61]                 // 000000009660: D1000036 00F26DB2
	v_cndmask_b32_e64 v66, v178, v66, s[60:61]                 // 000000009668: D1000042 00F285B2
	v_cndmask_b32_e64 v55, v178, v55, s[60:61]                 // 000000009670: D1000037 00F26FB2
	v_cndmask_b32_e64 v67, v178, v67, s[60:61]                 // 000000009678: D1000043 00F287B2
	s_branch label_1660                                        // 000000009680: BF82001B

0000000000009684 <label_1645>:
	s_mov_b32 s60, 64                                          // 000000009684: BEBC00C0
	v_and_b32_e32 v32, 15, v0                                  // 000000009688: 2640008F
	v_add_u32_e64 v32, v32, s60                                // 00000000968C: D1340020 00007920
	v_mul_i32_i24_e64 v33, s46, 16                             // 000000009694: D1060021 0001202E
	v_add_u32_e32 v32, v32, v33                                // 00000000969C: 68404320
	v_cmp_lt_u32_e64 s[60:61], v32, s101                       // 0000000096A0: D0C9003C 0000CB20
	s_nop 1                                                    // 0000000096A8: BF800001
	v_cndmask_b32_e64 v56, v178, v56, s[60:61]                 // 0000000096AC: D1000038 00F271B2
	v_cndmask_b32_e64 v68, v178, v68, s[60:61]                 // 0000000096B4: D1000044 00F289B2
	v_cndmask_b32_e64 v57, v178, v57, s[60:61]                 // 0000000096BC: D1000039 00F273B2
	v_cndmask_b32_e64 v69, v178, v69, s[60:61]                 // 0000000096C4: D1000045 00F28BB2
	v_cndmask_b32_e64 v58, v178, v58, s[60:61]                 // 0000000096CC: D100003A 00F275B2
	v_cndmask_b32_e64 v70, v178, v70, s[60:61]                 // 0000000096D4: D1000046 00F28DB2
	v_cndmask_b32_e64 v59, v178, v59, s[60:61]                 // 0000000096DC: D100003B 00F277B2
	v_cndmask_b32_e64 v71, v178, v71, s[60:61]                 // 0000000096E4: D1000047 00F28FB2
	s_branch label_1685                                        // 0000000096EC: BF820025

00000000000096f0 <label_1660>:
	v_mov_b32_e32 v56, v178                                    // 0000000096F0: 7E7003B2
	v_mov_b32_e32 v68, v178                                    // 0000000096F4: 7E8803B2
	v_mov_b32_e32 v57, v178                                    // 0000000096F8: 7E7203B2
	v_mov_b32_e32 v69, v178                                    // 0000000096FC: 7E8A03B2
	v_mov_b32_e32 v58, v178                                    // 000000009700: 7E7403B2
	v_mov_b32_e32 v70, v178                                    // 000000009704: 7E8C03B2
	v_mov_b32_e32 v59, v178                                    // 000000009708: 7E7603B2
	v_mov_b32_e32 v71, v178                                    // 00000000970C: 7E8E03B2
	s_branch label_1685                                        // 000000009710: BF82001C

0000000000009714 <label_1669>:
	s_mov_b32 s60, 0x80                                        // 000000009714: BEBC00FF 00000080
	v_and_b32_e32 v32, 15, v0                                  // 00000000971C: 2640008F
	v_add_u32_e64 v32, v32, s60                                // 000000009720: D1340020 00007920
	v_mul_i32_i24_e64 v33, s46, 16                             // 000000009728: D1060021 0001202E
	v_add_u32_e32 v32, v32, v33                                // 000000009730: 68404320
	v_cmp_lt_u32_e64 s[60:61], v32, s101                       // 000000009734: D0C9003C 0000CB20
	s_nop 1                                                    // 00000000973C: BF800001
	v_cndmask_b32_e64 v60, v178, v60, s[60:61]                 // 000000009740: D100003C 00F279B2
	v_cndmask_b32_e64 v72, v178, v72, s[60:61]                 // 000000009748: D1000048 00F291B2
	v_cndmask_b32_e64 v61, v178, v61, s[60:61]                 // 000000009750: D100003D 00F27BB2
	v_cndmask_b32_e64 v73, v178, v73, s[60:61]                 // 000000009758: D1000049 00F293B2
	v_cndmask_b32_e64 v62, v178, v62, s[60:61]                 // 000000009760: D100003E 00F27DB2
	v_cndmask_b32_e64 v74, v178, v74, s[60:61]                 // 000000009768: D100004A 00F295B2
	v_cndmask_b32_e64 v63, v178, v63, s[60:61]                 // 000000009770: D100003F 00F27FB2
	v_cndmask_b32_e64 v75, v178, v75, s[60:61]                 // 000000009778: D100004B 00F297B2
	s_branch label_168E                                        // 000000009780: BF820009

0000000000009784 <label_1685>:
	v_mov_b32_e32 v60, v178                                    // 000000009784: 7E7803B2
	v_mov_b32_e32 v72, v178                                    // 000000009788: 7E9003B2
	v_mov_b32_e32 v61, v178                                    // 00000000978C: 7E7A03B2
	v_mov_b32_e32 v73, v178                                    // 000000009790: 7E9203B2
	v_mov_b32_e32 v62, v178                                    // 000000009794: 7E7C03B2
	v_mov_b32_e32 v74, v178                                    // 000000009798: 7E9403B2
	v_mov_b32_e32 v63, v178                                    // 00000000979C: 7E7E03B2
	v_mov_b32_e32 v75, v178                                    // 0000000097A0: 7E9603B2
	s_branch label_168E                                        // 0000000097A4: BF820000

00000000000097a8 <label_168E>:
	s_addk_i32 s74, 0x1                                        // 0000000097A8: B74A0001
	s_waitcnt lgkmcnt(8)                                       // 0000000097AC: BF8CC87F
	s_barrier                                                  // 0000000097B0: BF8A0000
	v_mfma_f32_16x16x16_bf16 v[76:79], v[108:109], a[72:73], 0 // 0000000097B4: D3E1004C 1202916C
	v_fma_f32 v52, v52, s57, -v140                             // 0000000097BC: D1CB0034 86307334
	v_fma_f32 v53, v53, s57, -v141                             // 0000000097C4: D1CB0035 86347335
	v_fma_f32 v54, v54, s57, -v142                             // 0000000097CC: D1CB0036 86387336
	v_fma_f32 v55, v55, s57, -v143                             // 0000000097D4: D1CB0037 863C7337
	v_fma_f32 v56, v56, s57, -v140                             // 0000000097DC: D1CB0038 86307338
	v_fma_f32 v57, v57, s57, -v141                             // 0000000097E4: D1CB0039 86347339
	v_mfma_f32_16x16x16_bf16 v[76:79], v[110:111], a[74:75], v[76:79]// 0000000097EC: D3E1004C 1532956E
	ds_read_b128 a[96:99], v14 offset:4352                     // 0000000097F4: DBFE1100 6000000E
	ds_read_b128 a[100:103], v14 offset:4864                   // 0000000097FC: DBFE1300 6400000E
	v_mfma_f32_16x16x16_bf16 v[76:79], v[112:113], a[76:77], v[76:79]// 000000009804: D3E1004C 15329970
	v_fma_f32 v58, v58, s57, -v142                             // 00000000980C: D1CB003A 8638733A
	v_fma_f32 v59, v59, s57, -v143                             // 000000009814: D1CB003B 863C733B
	v_fma_f32 v60, v60, s57, -v140                             // 00000000981C: D1CB003C 8630733C
	v_fma_f32 v61, v61, s57, -v141                             // 000000009824: D1CB003D 8634733D
	v_fma_f32 v62, v62, s57, -v142                             // 00000000982C: D1CB003E 8638733E
	v_fma_f32 v63, v63, s57, -v143                             // 000000009834: D1CB003F 863C733F
	v_mfma_f32_16x16x16_bf16 v[76:79], v[114:115], a[78:79], v[76:79]// 00000000983C: D3E1004C 15329D72
	v_fma_f32 v64, v64, s57, -v144                             // 000000009844: D1CB0040 86407340
	v_fma_f32 v65, v65, s57, -v145                             // 00000000984C: D1CB0041 86447341
	v_fma_f32 v66, v66, s57, -v146                             // 000000009854: D1CB0042 86487342
	v_fma_f32 v67, v67, s57, -v147                             // 00000000985C: D1CB0043 864C7343
	v_fma_f32 v68, v68, s57, -v144                             // 000000009864: D1CB0044 86407344
	v_fma_f32 v69, v69, s57, -v145                             // 00000000986C: D1CB0045 86447345
	v_mfma_f32_16x16x16_bf16 v[80:83], v[108:109], a[80:81], 0 // 000000009874: D3E10050 1202A16C
	v_fma_f32 v70, v70, s57, -v146                             // 00000000987C: D1CB0046 86487346
	v_fma_f32 v71, v71, s57, -v147                             // 000000009884: D1CB0047 864C7347
	v_fma_f32 v72, v72, s57, -v144                             // 00000000988C: D1CB0048 86407348
	v_fma_f32 v73, v73, s57, -v145                             // 000000009894: D1CB0049 86447349
	v_fma_f32 v74, v74, s57, -v146                             // 00000000989C: D1CB004A 8648734A
	v_fma_f32 v75, v75, s57, -v147                             // 0000000098A4: D1CB004B 864C734B
	v_mfma_f32_16x16x16_bf16 v[80:83], v[110:111], a[82:83], v[80:83]// 0000000098AC: D3E10050 1542A56E
	ds_read_b128 a[104:107], v14 offset:6528                   // 0000000098B4: DBFE1980 6800000E
	ds_read_b128 a[108:111], v14 offset:7040                   // 0000000098BC: DBFE1B80 6C00000E
	v_mfma_f32_16x16x16_bf16 v[80:83], v[112:113], a[84:85], v[80:83]// 0000000098C4: D3E10050 1542A970
	v_exp_f32_e32 v52, v52                                     // 0000000098CC: 7E684134
	v_exp_f32_e32 v53, v53                                     // 0000000098D0: 7E6A4135
	v_mfma_f32_16x16x16_bf16 v[80:83], v[114:115], a[86:87], v[80:83]// 0000000098D4: D3E10050 1542AD72
	v_exp_f32_e32 v54, v54                                     // 0000000098DC: 7E6C4136
	v_exp_f32_e32 v55, v55                                     // 0000000098E0: 7E6E4137
	v_mfma_f32_16x16x16_bf16 v[84:87], v[108:109], a[88:89], 0 // 0000000098E4: D3E10054 1202B16C
	v_exp_f32_e32 v56, v56                                     // 0000000098EC: 7E704138
	v_exp_f32_e32 v57, v57                                     // 0000000098F0: 7E724139
	v_mfma_f32_16x16x16_bf16 v[84:87], v[110:111], a[90:91], v[84:87]// 0000000098F4: D3E10054 1552B56E
	ds_read_b64 v[156:157], v21 offset:31232                   // 0000000098FC: D8EC7A00 9C000015
	ds_read_b64 v[158:159], v21 offset:33280                   // 000000009904: D8EC8200 9E000015
	v_mfma_f32_16x16x16_bf16 v[84:87], v[112:113], a[92:93], v[84:87]// 00000000990C: D3E10054 1552B970
	v_exp_f32_e32 v58, v58                                     // 000000009914: 7E74413A
	v_exp_f32_e32 v59, v59                                     // 000000009918: 7E76413B
	v_mfma_f32_16x16x16_bf16 v[84:87], v[114:115], a[94:95], v[84:87]// 00000000991C: D3E10054 1552BD72
	ds_read_b64 v[160:161], v21 offset:35328                   // 000000009924: D8EC8A00 A0000015
	ds_read_b64 v[162:163], v21 offset:37376                   // 00000000992C: D8EC9200 A2000015
	v_mfma_f32_16x16x16_bf16 v[88:91], v[116:117], a[72:73], 0 // 000000009934: D3E10058 12029174
	v_exp_f32_e32 v60, v60                                     // 00000000993C: 7E78413C
	v_exp_f32_e32 v61, v61                                     // 000000009940: 7E7A413D
	v_mfma_f32_16x16x16_bf16 v[88:91], v[118:119], a[74:75], v[88:91]// 000000009944: D3E10058 15629576
	v_exp_f32_e32 v62, v62                                     // 00000000994C: 7E7C413E
	v_exp_f32_e32 v63, v63                                     // 000000009950: 7E7E413F
	v_mfma_f32_16x16x16_bf16 v[88:91], v[120:121], a[76:77], v[88:91]// 000000009954: D3E10058 15629978
	v_exp_f32_e32 v64, v64                                     // 00000000995C: 7E804140
	v_exp_f32_e32 v65, v65                                     // 000000009960: 7E824141
	v_mfma_f32_16x16x16_bf16 v[88:91], v[122:123], a[78:79], v[88:91]// 000000009964: D3E10058 15629D7A
	v_exp_f32_e32 v66, v66                                     // 00000000996C: 7E844142
	v_exp_f32_e32 v67, v67                                     // 000000009970: 7E864143
	v_mfma_f32_16x16x16_bf16 v[92:95], v[116:117], a[80:81], 0 // 000000009974: D3E1005C 1202A174
	v_exp_f32_e32 v68, v68                                     // 00000000997C: 7E884144
	v_exp_f32_e32 v69, v69                                     // 000000009980: 7E8A4145
	v_mfma_f32_16x16x16_bf16 v[92:95], v[118:119], a[82:83], v[92:95]// 000000009984: D3E1005C 1572A576
	v_exp_f32_e32 v70, v70                                     // 00000000998C: 7E8C4146
	v_exp_f32_e32 v71, v71                                     // 000000009990: 7E8E4147
	v_mfma_f32_16x16x16_bf16 v[92:95], v[120:121], a[84:85], v[92:95]// 000000009994: D3E1005C 1572A978
	v_exp_f32_e32 v72, v72                                     // 00000000999C: 7E904148
	v_exp_f32_e32 v73, v73                                     // 0000000099A0: 7E924149
	v_mfma_f32_16x16x16_bf16 v[92:95], v[122:123], a[86:87], v[92:95]// 0000000099A4: D3E1005C 1572AD7A
	v_exp_f32_e32 v74, v74                                     // 0000000099AC: 7E94414A
	v_exp_f32_e32 v75, v75                                     // 0000000099B0: 7E96414B
	v_mfma_f32_16x16x16_bf16 v[96:99], v[116:117], a[88:89], 0 // 0000000099B4: D3E10060 1202B174
	v_cmp_u_f32_e64 s[78:79], v52, v52                         // 0000000099BC: D048004E 00026934
	v_add3_u32 v228, v52, v231, 1                              // 0000000099C4: D1FF00E4 0207CF34
	v_cndmask_b32_e64 v32, v228, v230, s[78:79]                // 0000000099CC: D1000020 013BCDE4
	v_cmp_u_f32_e64 s[78:79], v53, v53                         // 0000000099D4: D048004E 00026B35
	v_add3_u32 v228, v53, v231, 1                              // 0000000099DC: D1FF00E4 0207CF35
	v_cndmask_b32_e64 v33, v228, v230, s[78:79]                // 0000000099E4: D1000021 013BCDE4
	v_perm_b32 v164, v33, v32, s64                             // 0000000099EC: D1ED00A4 01024121
	v_cmp_u_f32_e64 s[78:79], v54, v54                         // 0000000099F4: D048004E 00026D36
	v_add3_u32 v228, v54, v231, 1                              // 0000000099FC: D1FF00E4 0207CF36
	v_cndmask_b32_e64 v32, v228, v230, s[78:79]                // 000000009A04: D1000020 013BCDE4
	v_cmp_u_f32_e64 s[78:79], v55, v55                         // 000000009A0C: D048004E 00026F37
	v_add3_u32 v228, v55, v231, 1                              // 000000009A14: D1FF00E4 0207CF37
	v_cndmask_b32_e64 v33, v228, v230, s[78:79]                // 000000009A1C: D1000021 013BCDE4
	v_perm_b32 v165, v33, v32, s64                             // 000000009A24: D1ED00A5 01024121
	v_cmp_u_f32_e64 s[78:79], v56, v56                         // 000000009A2C: D048004E 00027138
	v_add3_u32 v228, v56, v231, 1                              // 000000009A34: D1FF00E4 0207CF38
	v_cndmask_b32_e64 v32, v228, v230, s[78:79]                // 000000009A3C: D1000020 013BCDE4
	v_cmp_u_f32_e64 s[78:79], v57, v57                         // 000000009A44: D048004E 00027339
	v_add3_u32 v228, v57, v231, 1                              // 000000009A4C: D1FF00E4 0207CF39
	v_cndmask_b32_e64 v33, v228, v230, s[78:79]                // 000000009A54: D1000021 013BCDE4
	v_perm_b32 v166, v33, v32, s64                             // 000000009A5C: D1ED00A6 01024121
	v_cmp_u_f32_e64 s[78:79], v58, v58                         // 000000009A64: D048004E 0002753A
	v_add3_u32 v228, v58, v231, 1                              // 000000009A6C: D1FF00E4 0207CF3A
	v_cndmask_b32_e64 v32, v228, v230, s[78:79]                // 000000009A74: D1000020 013BCDE4
	v_cmp_u_f32_e64 s[78:79], v59, v59                         // 000000009A7C: D048004E 0002773B
	v_add3_u32 v228, v59, v231, 1                              // 000000009A84: D1FF00E4 0207CF3B
	v_cndmask_b32_e64 v33, v228, v230, s[78:79]                // 000000009A8C: D1000021 013BCDE4
	v_perm_b32 v167, v33, v32, s64                             // 000000009A94: D1ED00A7 01024121
	v_cmp_u_f32_e64 s[78:79], v60, v60                         // 000000009A9C: D048004E 0002793C
	v_add3_u32 v228, v60, v231, 1                              // 000000009AA4: D1FF00E4 0207CF3C
	v_cndmask_b32_e64 v32, v228, v230, s[78:79]                // 000000009AAC: D1000020 013BCDE4
	v_cmp_u_f32_e64 s[78:79], v61, v61                         // 000000009AB4: D048004E 00027B3D
	v_add3_u32 v228, v61, v231, 1                              // 000000009ABC: D1FF00E4 0207CF3D
	v_cndmask_b32_e64 v33, v228, v230, s[78:79]                // 000000009AC4: D1000021 013BCDE4
	v_perm_b32 v168, v33, v32, s64                             // 000000009ACC: D1ED00A8 01024121
	v_cmp_u_f32_e64 s[78:79], v62, v62                         // 000000009AD4: D048004E 00027D3E
	v_add3_u32 v228, v62, v231, 1                              // 000000009ADC: D1FF00E4 0207CF3E
	v_cndmask_b32_e64 v32, v228, v230, s[78:79]                // 000000009AE4: D1000020 013BCDE4
	v_cmp_u_f32_e64 s[78:79], v63, v63                         // 000000009AEC: D048004E 00027F3F
	v_add3_u32 v228, v63, v231, 1                              // 000000009AF4: D1FF00E4 0207CF3F
	v_cndmask_b32_e64 v33, v228, v230, s[78:79]                // 000000009AFC: D1000021 013BCDE4
	v_perm_b32 v169, v33, v32, s64                             // 000000009B04: D1ED00A9 01024121
	v_mfma_f32_16x16x16_bf16 v[96:99], v[118:119], a[90:91], v[96:99]// 000000009B0C: D3E10060 1582B576
	v_cmp_u_f32_e64 s[78:79], v64, v64                         // 000000009B14: D048004E 00028140
	v_add3_u32 v228, v64, v231, 1                              // 000000009B1C: D1FF00E4 0207CF40
	v_cndmask_b32_e64 v32, v228, v230, s[78:79]                // 000000009B24: D1000020 013BCDE4
	v_cmp_u_f32_e64 s[78:79], v65, v65                         // 000000009B2C: D048004E 00028341
	v_add3_u32 v228, v65, v231, 1                              // 000000009B34: D1FF00E4 0207CF41
	v_cndmask_b32_e64 v33, v228, v230, s[78:79]                // 000000009B3C: D1000021 013BCDE4
	v_perm_b32 v170, v33, v32, s64                             // 000000009B44: D1ED00AA 01024121
	v_cmp_u_f32_e64 s[78:79], v66, v66                         // 000000009B4C: D048004E 00028542
	v_add3_u32 v228, v66, v231, 1                              // 000000009B54: D1FF00E4 0207CF42
	v_cndmask_b32_e64 v32, v228, v230, s[78:79]                // 000000009B5C: D1000020 013BCDE4
	v_cmp_u_f32_e64 s[78:79], v67, v67                         // 000000009B64: D048004E 00028743
	v_add3_u32 v228, v67, v231, 1                              // 000000009B6C: D1FF00E4 0207CF43
	v_cndmask_b32_e64 v33, v228, v230, s[78:79]                // 000000009B74: D1000021 013BCDE4
	v_perm_b32 v171, v33, v32, s64                             // 000000009B7C: D1ED00AB 01024121
	v_cmp_u_f32_e64 s[78:79], v68, v68                         // 000000009B84: D048004E 00028944
	v_add3_u32 v228, v68, v231, 1                              // 000000009B8C: D1FF00E4 0207CF44
	v_cndmask_b32_e64 v32, v228, v230, s[78:79]                // 000000009B94: D1000020 013BCDE4
	v_cmp_u_f32_e64 s[78:79], v69, v69                         // 000000009B9C: D048004E 00028B45
	v_add3_u32 v228, v69, v231, 1                              // 000000009BA4: D1FF00E4 0207CF45
	v_cndmask_b32_e64 v33, v228, v230, s[78:79]                // 000000009BAC: D1000021 013BCDE4
	v_perm_b32 v172, v33, v32, s64                             // 000000009BB4: D1ED00AC 01024121
	v_cmp_u_f32_e64 s[78:79], v70, v70                         // 000000009BBC: D048004E 00028D46
	v_add3_u32 v228, v70, v231, 1                              // 000000009BC4: D1FF00E4 0207CF46
	v_cndmask_b32_e64 v32, v228, v230, s[78:79]                // 000000009BCC: D1000020 013BCDE4
	v_cmp_u_f32_e64 s[78:79], v71, v71                         // 000000009BD4: D048004E 00028F47
	v_add3_u32 v228, v71, v231, 1                              // 000000009BDC: D1FF00E4 0207CF47
	v_cndmask_b32_e64 v33, v228, v230, s[78:79]                // 000000009BE4: D1000021 013BCDE4
	v_perm_b32 v173, v33, v32, s64                             // 000000009BEC: D1ED00AD 01024121
	v_cmp_u_f32_e64 s[78:79], v72, v72                         // 000000009BF4: D048004E 00029148
	v_add3_u32 v228, v72, v231, 1                              // 000000009BFC: D1FF00E4 0207CF48
	v_cndmask_b32_e64 v32, v228, v230, s[78:79]                // 000000009C04: D1000020 013BCDE4
	v_cmp_u_f32_e64 s[78:79], v73, v73                         // 000000009C0C: D048004E 00029349
	v_add3_u32 v228, v73, v231, 1                              // 000000009C14: D1FF00E4 0207CF49
	v_cndmask_b32_e64 v33, v228, v230, s[78:79]                // 000000009C1C: D1000021 013BCDE4
	v_perm_b32 v174, v33, v32, s64                             // 000000009C24: D1ED00AE 01024121
	v_cmp_u_f32_e64 s[78:79], v74, v74                         // 000000009C2C: D048004E 0002954A
	v_add3_u32 v228, v74, v231, 1                              // 000000009C34: D1FF00E4 0207CF4A
	v_cndmask_b32_e64 v32, v228, v230, s[78:79]                // 000000009C3C: D1000020 013BCDE4
	v_cmp_u_f32_e64 s[78:79], v75, v75                         // 000000009C44: D048004E 0002974B
	v_add3_u32 v228, v75, v231, 1                              // 000000009C4C: D1FF00E4 0207CF4B
	v_cndmask_b32_e64 v33, v228, v230, s[78:79]                // 000000009C54: D1000021 013BCDE4
	v_perm_b32 v175, v33, v32, s64                             // 000000009C5C: D1ED00AF 01024121
	v_mfma_f32_16x16x16_bf16 v[96:99], v[120:121], a[92:93], v[96:99]// 000000009C64: D3E10060 1582B978
	v_add_u32_e32 v6, s66, v6                                  // 000000009C6C: 680C0C42
	v_add_u32_e32 v7, s66, v7                                  // 000000009C70: 680E0E42
	v_add_u32_e32 v8, s66, v8                                  // 000000009C74: 68101042
	v_add_u32_e32 v9, s66, v9                                  // 000000009C78: 68121242
	v_mfma_f32_16x16x16_bf16 v[96:99], v[122:123], a[94:95], v[96:99]// 000000009C7C: D3E10060 1582BD7A
	s_waitcnt lgkmcnt(0)                                       // 000000009C84: BF8CC07F
	s_barrier                                                  // 000000009C88: BF8A0000
	v_mfma_f32_16x16x16_bf16 v[180:183], v[124:125], v[164:165], v[180:183]// 000000009C8C: D3E100B4 06D3497C
	v_subrev_f32_dpp v76, v176, v76 quad_perm:[0,0,0,0] row_mask:0xf bank_mask:0xf// 000000009C94: 069898FA FF0000B0
	v_subrev_f32_dpp v77, v176, v77 quad_perm:[1,1,1,1] row_mask:0xf bank_mask:0xf// 000000009C9C: 069A9AFA FF0055B0
	v_subrev_f32_dpp v78, v176, v78 quad_perm:[2,2,2,2] row_mask:0xf bank_mask:0xf// 000000009CA4: 069C9CFA FF00AAB0
	v_subrev_f32_dpp v79, v176, v79 quad_perm:[3,3,3,3] row_mask:0xf bank_mask:0xf// 000000009CAC: 069E9EFA FF00FFB0
	v_subrev_f32_dpp v80, v176, v80 quad_perm:[0,0,0,0] row_mask:0xf bank_mask:0xf// 000000009CB4: 06A0A0FA FF0000B0
	v_subrev_f32_dpp v81, v176, v81 quad_perm:[1,1,1,1] row_mask:0xf bank_mask:0xf// 000000009CBC: 06A2A2FA FF0055B0
	v_mfma_f32_16x16x16_bf16 v[184:187], v[126:127], v[164:165], v[184:187]// 000000009CC4: D3E100B8 06E3497E
	v_subrev_f32_dpp v82, v176, v82 quad_perm:[2,2,2,2] row_mask:0xf bank_mask:0xf// 000000009CCC: 06A4A4FA FF00AAB0
	v_subrev_f32_dpp v83, v176, v83 quad_perm:[3,3,3,3] row_mask:0xf bank_mask:0xf// 000000009CD4: 06A6A6FA FF00FFB0
	v_subrev_f32_dpp v84, v176, v84 quad_perm:[0,0,0,0] row_mask:0xf bank_mask:0xf// 000000009CDC: 06A8A8FA FF0000B0
	v_subrev_f32_dpp v85, v176, v85 quad_perm:[1,1,1,1] row_mask:0xf bank_mask:0xf// 000000009CE4: 06AAAAFA FF0055B0
	v_subrev_f32_dpp v86, v176, v86 quad_perm:[2,2,2,2] row_mask:0xf bank_mask:0xf// 000000009CEC: 06ACACFA FF00AAB0
	v_subrev_f32_dpp v87, v176, v87 quad_perm:[3,3,3,3] row_mask:0xf bank_mask:0xf// 000000009CF4: 06AEAEFA FF00FFB0
	v_mfma_f32_16x16x16_bf16 v[188:191], v[128:129], v[164:165], v[188:191]// 000000009CFC: D3E100BC 06F34980
	v_mul_f32_e32 v76, v52, v76                                // 000000009D04: 0A989934
	v_mul_f32_e32 v77, v53, v77                                // 000000009D08: 0A9A9B35
	v_mul_f32_e32 v78, v54, v78                                // 000000009D0C: 0A9C9D36
	v_mul_f32_e32 v79, v55, v79                                // 000000009D10: 0A9E9F37
	v_mul_f32_e32 v80, v56, v80                                // 000000009D14: 0AA0A138
	v_mul_f32_e32 v81, v57, v81                                // 000000009D18: 0AA2A339
	v_mfma_f32_16x16x16_bf16 v[192:195], v[130:131], v[164:165], v[192:195]// 000000009D1C: D3E100C0 07034982
	v_mul_f32_e32 v82, v58, v82                                // 000000009D24: 0AA4A53A
	v_mul_f32_e32 v83, v59, v83                                // 000000009D28: 0AA6A73B
	v_mul_f32_e32 v84, v60, v84                                // 000000009D2C: 0AA8A93C
	v_mul_f32_e32 v85, v61, v85                                // 000000009D30: 0AAAAB3D
	v_mul_f32_e32 v86, v62, v86                                // 000000009D34: 0AACAD3E
	v_mul_f32_e32 v87, v63, v87                                // 000000009D38: 0AAEAF3F
	v_mfma_f32_16x16x16_bf16 v[196:199], v[124:125], v[166:167], v[196:199]// 000000009D3C: D3E100C4 07134D7C
	v_cmp_u_f32_e64 s[78:79], v76, v76                         // 000000009D44: D048004E 0002994C
	v_add3_u32 v228, v76, v231, 1                              // 000000009D4C: D1FF00E4 0207CF4C
	v_cndmask_b32_e64 v32, v228, v230, s[78:79]                // 000000009D54: D1000020 013BCDE4
	v_cmp_u_f32_e64 s[78:79], v77, v77                         // 000000009D5C: D048004E 00029B4D
	v_add3_u32 v228, v77, v231, 1                              // 000000009D64: D1FF00E4 0207CF4D
	v_cndmask_b32_e64 v33, v228, v230, s[78:79]                // 000000009D6C: D1000021 013BCDE4
	v_perm_b32 v76, v33, v32, s64                              // 000000009D74: D1ED004C 01024121
	v_cmp_u_f32_e64 s[78:79], v78, v78                         // 000000009D7C: D048004E 00029D4E
	v_add3_u32 v228, v78, v231, 1                              // 000000009D84: D1FF00E4 0207CF4E
	v_cndmask_b32_e64 v32, v228, v230, s[78:79]                // 000000009D8C: D1000020 013BCDE4
	v_cmp_u_f32_e64 s[78:79], v79, v79                         // 000000009D94: D048004E 00029F4F
	v_add3_u32 v228, v79, v231, 1                              // 000000009D9C: D1FF00E4 0207CF4F
	v_cndmask_b32_e64 v33, v228, v230, s[78:79]                // 000000009DA4: D1000021 013BCDE4
	v_perm_b32 v77, v33, v32, s64                              // 000000009DAC: D1ED004D 01024121
	v_cmp_u_f32_e64 s[78:79], v80, v80                         // 000000009DB4: D048004E 0002A150
	v_add3_u32 v228, v80, v231, 1                              // 000000009DBC: D1FF00E4 0207CF50
	v_cndmask_b32_e64 v32, v228, v230, s[78:79]                // 000000009DC4: D1000020 013BCDE4
	v_cmp_u_f32_e64 s[78:79], v81, v81                         // 000000009DCC: D048004E 0002A351
	v_add3_u32 v228, v81, v231, 1                              // 000000009DD4: D1FF00E4 0207CF51
	v_cndmask_b32_e64 v33, v228, v230, s[78:79]                // 000000009DDC: D1000021 013BCDE4
	v_perm_b32 v78, v33, v32, s64                              // 000000009DE4: D1ED004E 01024121
	v_cmp_u_f32_e64 s[78:79], v82, v82                         // 000000009DEC: D048004E 0002A552
	v_add3_u32 v228, v82, v231, 1                              // 000000009DF4: D1FF00E4 0207CF52
	v_cndmask_b32_e64 v32, v228, v230, s[78:79]                // 000000009DFC: D1000020 013BCDE4
	v_cmp_u_f32_e64 s[78:79], v83, v83                         // 000000009E04: D048004E 0002A753
	v_add3_u32 v228, v83, v231, 1                              // 000000009E0C: D1FF00E4 0207CF53
	v_cndmask_b32_e64 v33, v228, v230, s[78:79]                // 000000009E14: D1000021 013BCDE4
	v_perm_b32 v79, v33, v32, s64                              // 000000009E1C: D1ED004F 01024121
	v_cmp_u_f32_e64 s[78:79], v84, v84                         // 000000009E24: D048004E 0002A954
	v_add3_u32 v228, v84, v231, 1                              // 000000009E2C: D1FF00E4 0207CF54
	v_cndmask_b32_e64 v32, v228, v230, s[78:79]                // 000000009E34: D1000020 013BCDE4
	v_cmp_u_f32_e64 s[78:79], v85, v85                         // 000000009E3C: D048004E 0002AB55
	v_add3_u32 v228, v85, v231, 1                              // 000000009E44: D1FF00E4 0207CF55
	v_cndmask_b32_e64 v33, v228, v230, s[78:79]                // 000000009E4C: D1000021 013BCDE4
	v_perm_b32 v80, v33, v32, s64                              // 000000009E54: D1ED0050 01024121
	v_cmp_u_f32_e64 s[78:79], v86, v86                         // 000000009E5C: D048004E 0002AD56
	v_add3_u32 v228, v86, v231, 1                              // 000000009E64: D1FF00E4 0207CF56
	v_cndmask_b32_e64 v32, v228, v230, s[78:79]                // 000000009E6C: D1000020 013BCDE4
	v_cmp_u_f32_e64 s[78:79], v87, v87                         // 000000009E74: D048004E 0002AF57
	v_add3_u32 v228, v87, v231, 1                              // 000000009E7C: D1FF00E4 0207CF57
	v_cndmask_b32_e64 v33, v228, v230, s[78:79]                // 000000009E84: D1000021 013BCDE4
	v_perm_b32 v81, v33, v32, s64                              // 000000009E8C: D1ED0051 01024121
	v_mfma_f32_16x16x16_bf16 v[200:203], v[126:127], v[166:167], v[200:203]// 000000009E94: D3E100C8 07234D7E
	v_mov_b32_dpp v18, v76 quad_perm:[1,0,3,2] row_mask:0xf bank_mask:0xf// 000000009E9C: 7E2402FA FF00B14C
	v_perm_b32 v52, v18, v76, v17                              // 000000009EA4: D1ED0034 04469912
	v_mov_b32_dpp v18, v77 quad_perm:[1,0,3,2] row_mask:0xf bank_mask:0xf// 000000009EAC: 7E2402FA FF00B14D
	v_perm_b32 v53, v18, v77, v17                              // 000000009EB4: D1ED0035 04469B12
	v_mov_b32_dpp v18, v78 quad_perm:[1,0,3,2] row_mask:0xf bank_mask:0xf// 000000009EBC: 7E2402FA FF00B14E
	v_perm_b32 v54, v18, v78, v17                              // 000000009EC4: D1ED0036 04469D12
	v_mfma_f32_16x16x16_bf16 v[204:207], v[128:129], v[166:167], v[204:207]// 000000009ECC: D3E100CC 07334D80
	ds_write_b32 v20, v52 offset:17408                         // 000000009ED4: D81A4400 00003414
	ds_write_b32 v20, v53 offset:17952                         // 000000009EDC: D81A4620 00003514
	v_mfma_f32_16x16x16_bf16 v[208:211], v[130:131], v[166:167], v[208:211]// 000000009EE4: D3E100D0 07434D82
	v_mov_b32_dpp v18, v79 quad_perm:[1,0,3,2] row_mask:0xf bank_mask:0xf// 000000009EEC: 7E2402FA FF00B14F
	v_perm_b32 v55, v18, v79, v17                              // 000000009EF4: D1ED0037 04469F12
	v_mov_b32_dpp v18, v80 quad_perm:[1,0,3,2] row_mask:0xf bank_mask:0xf// 000000009EFC: 7E2402FA FF00B150
	v_perm_b32 v56, v18, v80, v17                              // 000000009F04: D1ED0038 0446A112
	v_mov_b32_dpp v18, v81 quad_perm:[1,0,3,2] row_mask:0xf bank_mask:0xf// 000000009F0C: 7E2402FA FF00B151
	v_perm_b32 v57, v18, v81, v17                              // 000000009F14: D1ED0039 0446A312
	v_mfma_f32_16x16x16_bf16 v[212:215], v[124:125], v[168:169], v[212:215]// 000000009F1C: D3E100D4 0753517C
	ds_write_b32 v20, v54 offset:19712                         // 000000009F24: D81A4D00 00003614
	ds_write_b32 v20, v55 offset:20256                         // 000000009F2C: D81A4F20 00003714
	v_mfma_f32_16x16x16_bf16 v[216:219], v[126:127], v[168:169], v[216:219]// 000000009F34: D3E100D8 0763517E
	v_subrev_f32_dpp v88, v177, v88 quad_perm:[0,0,0,0] row_mask:0xf bank_mask:0xf// 000000009F3C: 06B0B0FA FF0000B1
	v_subrev_f32_dpp v89, v177, v89 quad_perm:[1,1,1,1] row_mask:0xf bank_mask:0xf// 000000009F44: 06B2B2FA FF0055B1
	v_subrev_f32_dpp v90, v177, v90 quad_perm:[2,2,2,2] row_mask:0xf bank_mask:0xf// 000000009F4C: 06B4B4FA FF00AAB1
	v_subrev_f32_dpp v91, v177, v91 quad_perm:[3,3,3,3] row_mask:0xf bank_mask:0xf// 000000009F54: 06B6B6FA FF00FFB1
	v_subrev_f32_dpp v92, v177, v92 quad_perm:[0,0,0,0] row_mask:0xf bank_mask:0xf// 000000009F5C: 06B8B8FA FF0000B1
	v_subrev_f32_dpp v93, v177, v93 quad_perm:[1,1,1,1] row_mask:0xf bank_mask:0xf// 000000009F64: 06BABAFA FF0055B1
	v_mfma_f32_16x16x16_bf16 v[220:223], v[128:129], v[168:169], v[220:223]// 000000009F6C: D3E100DC 07735180
	ds_write_b32 v20, v56 offset:22016                         // 000000009F74: D81A5600 00003814
	ds_write_b32 v20, v57 offset:22560                         // 000000009F7C: D81A5820 00003914
	v_mfma_f32_16x16x16_bf16 v[224:227], v[130:131], v[168:169], v[224:227]// 000000009F84: D3E100E0 07835182
	v_subrev_f32_dpp v94, v177, v94 quad_perm:[2,2,2,2] row_mask:0xf bank_mask:0xf// 000000009F8C: 06BCBCFA FF00AAB1
	v_subrev_f32_dpp v95, v177, v95 quad_perm:[3,3,3,3] row_mask:0xf bank_mask:0xf// 000000009F94: 06BEBEFA FF00FFB1
	v_subrev_f32_dpp v96, v177, v96 quad_perm:[0,0,0,0] row_mask:0xf bank_mask:0xf// 000000009F9C: 06C0C0FA FF0000B1
	v_subrev_f32_dpp v97, v177, v97 quad_perm:[1,1,1,1] row_mask:0xf bank_mask:0xf// 000000009FA4: 06C2C2FA FF0055B1
	v_subrev_f32_dpp v98, v177, v98 quad_perm:[2,2,2,2] row_mask:0xf bank_mask:0xf// 000000009FAC: 06C4C4FA FF00AAB1
	v_subrev_f32_dpp v99, v177, v99 quad_perm:[3,3,3,3] row_mask:0xf bank_mask:0xf// 000000009FB4: 06C6C6FA FF00FFB1
	v_mfma_f32_16x16x16_bf16 v[180:183], v[132:133], v[170:171], v[180:183]// 000000009FBC: D3E100B4 06D35584
	v_mul_f32_e32 v88, v64, v88                                // 000000009FC4: 0AB0B140
	v_mul_f32_e32 v89, v65, v89                                // 000000009FC8: 0AB2B341
	v_mul_f32_e32 v90, v66, v90                                // 000000009FCC: 0AB4B542
	v_mul_f32_e32 v91, v67, v91                                // 000000009FD0: 0AB6B743
	v_mul_f32_e32 v92, v68, v92                                // 000000009FD4: 0AB8B944
	v_mul_f32_e32 v93, v69, v93                                // 000000009FD8: 0ABABB45
	v_mfma_f32_16x16x16_bf16 v[184:187], v[134:135], v[170:171], v[184:187]// 000000009FDC: D3E100B8 06E35586
	v_mul_f32_e32 v94, v70, v94                                // 000000009FE4: 0ABCBD46
	v_mul_f32_e32 v95, v71, v95                                // 000000009FE8: 0ABEBF47
	v_mul_f32_e32 v96, v72, v96                                // 000000009FEC: 0AC0C148
	v_mul_f32_e32 v97, v73, v97                                // 000000009FF0: 0AC2C349
	v_mul_f32_e32 v98, v74, v98                                // 000000009FF4: 0AC4C54A
	v_mul_f32_e32 v99, v75, v99                                // 000000009FF8: 0AC6C74B
	v_mfma_f32_16x16x16_bf16 v[188:191], v[136:137], v[170:171], v[188:191]// 000000009FFC: D3E100BC 06F35588
	v_cmp_u_f32_e64 s[78:79], v88, v88                         // 00000000A004: D048004E 0002B158
	v_add3_u32 v228, v88, v231, 1                              // 00000000A00C: D1FF00E4 0207CF58
	v_cndmask_b32_e64 v32, v228, v230, s[78:79]                // 00000000A014: D1000020 013BCDE4
	v_cmp_u_f32_e64 s[78:79], v89, v89                         // 00000000A01C: D048004E 0002B359
	v_add3_u32 v228, v89, v231, 1                              // 00000000A024: D1FF00E4 0207CF59
	v_cndmask_b32_e64 v33, v228, v230, s[78:79]                // 00000000A02C: D1000021 013BCDE4
	v_perm_b32 v82, v33, v32, s64                              // 00000000A034: D1ED0052 01024121
	v_cmp_u_f32_e64 s[78:79], v90, v90                         // 00000000A03C: D048004E 0002B55A
	v_add3_u32 v228, v90, v231, 1                              // 00000000A044: D1FF00E4 0207CF5A
	v_cndmask_b32_e64 v32, v228, v230, s[78:79]                // 00000000A04C: D1000020 013BCDE4
	v_cmp_u_f32_e64 s[78:79], v91, v91                         // 00000000A054: D048004E 0002B75B
	v_add3_u32 v228, v91, v231, 1                              // 00000000A05C: D1FF00E4 0207CF5B
	v_cndmask_b32_e64 v33, v228, v230, s[78:79]                // 00000000A064: D1000021 013BCDE4
	v_perm_b32 v83, v33, v32, s64                              // 00000000A06C: D1ED0053 01024121
	v_cmp_u_f32_e64 s[78:79], v92, v92                         // 00000000A074: D048004E 0002B95C
	v_add3_u32 v228, v92, v231, 1                              // 00000000A07C: D1FF00E4 0207CF5C
	v_cndmask_b32_e64 v32, v228, v230, s[78:79]                // 00000000A084: D1000020 013BCDE4
	v_cmp_u_f32_e64 s[78:79], v93, v93                         // 00000000A08C: D048004E 0002BB5D
	v_add3_u32 v228, v93, v231, 1                              // 00000000A094: D1FF00E4 0207CF5D
	v_cndmask_b32_e64 v33, v228, v230, s[78:79]                // 00000000A09C: D1000021 013BCDE4
	v_perm_b32 v84, v33, v32, s64                              // 00000000A0A4: D1ED0054 01024121
	v_cmp_u_f32_e64 s[78:79], v94, v94                         // 00000000A0AC: D048004E 0002BD5E
	v_add3_u32 v228, v94, v231, 1                              // 00000000A0B4: D1FF00E4 0207CF5E
	v_cndmask_b32_e64 v32, v228, v230, s[78:79]                // 00000000A0BC: D1000020 013BCDE4
	v_cmp_u_f32_e64 s[78:79], v95, v95                         // 00000000A0C4: D048004E 0002BF5F
	v_add3_u32 v228, v95, v231, 1                              // 00000000A0CC: D1FF00E4 0207CF5F
	v_cndmask_b32_e64 v33, v228, v230, s[78:79]                // 00000000A0D4: D1000021 013BCDE4
	v_perm_b32 v85, v33, v32, s64                              // 00000000A0DC: D1ED0055 01024121
	v_cmp_u_f32_e64 s[78:79], v96, v96                         // 00000000A0E4: D048004E 0002C160
	v_add3_u32 v228, v96, v231, 1                              // 00000000A0EC: D1FF00E4 0207CF60
	v_cndmask_b32_e64 v32, v228, v230, s[78:79]                // 00000000A0F4: D1000020 013BCDE4
	v_cmp_u_f32_e64 s[78:79], v97, v97                         // 00000000A0FC: D048004E 0002C361
	v_add3_u32 v228, v97, v231, 1                              // 00000000A104: D1FF00E4 0207CF61
	v_cndmask_b32_e64 v33, v228, v230, s[78:79]                // 00000000A10C: D1000021 013BCDE4
	v_perm_b32 v86, v33, v32, s64                              // 00000000A114: D1ED0056 01024121
	v_cmp_u_f32_e64 s[78:79], v98, v98                         // 00000000A11C: D048004E 0002C562
	v_add3_u32 v228, v98, v231, 1                              // 00000000A124: D1FF00E4 0207CF62
	v_cndmask_b32_e64 v32, v228, v230, s[78:79]                // 00000000A12C: D1000020 013BCDE4
	v_cmp_u_f32_e64 s[78:79], v99, v99                         // 00000000A134: D048004E 0002C763
	v_add3_u32 v228, v99, v231, 1                              // 00000000A13C: D1FF00E4 0207CF63
	v_cndmask_b32_e64 v33, v228, v230, s[78:79]                // 00000000A144: D1000021 013BCDE4
	v_perm_b32 v87, v33, v32, s64                              // 00000000A14C: D1ED0057 01024121
	v_mfma_f32_16x16x16_bf16 v[192:195], v[138:139], v[170:171], v[192:195]// 00000000A154: D3E100C0 0703558A
	v_mov_b32_dpp v18, v82 quad_perm:[1,0,3,2] row_mask:0xf bank_mask:0xf// 00000000A15C: 7E2402FA FF00B152
	v_perm_b32 v58, v18, v82, v17                              // 00000000A164: D1ED003A 0446A512
	v_mov_b32_dpp v18, v83 quad_perm:[1,0,3,2] row_mask:0xf bank_mask:0xf// 00000000A16C: 7E2402FA FF00B153
	v_perm_b32 v59, v18, v83, v17                              // 00000000A174: D1ED003B 0446A712
	v_mov_b32_dpp v18, v84 quad_perm:[1,0,3,2] row_mask:0xf bank_mask:0xf// 00000000A17C: 7E2402FA FF00B154
	v_perm_b32 v60, v18, v84, v17                              // 00000000A184: D1ED003C 0446A912
	v_mfma_f32_16x16x16_bf16 v[196:199], v[132:133], v[172:173], v[196:199]// 00000000A18C: D3E100C4 07135984
	ds_write_b32 v20, v58 offset:24320                         // 00000000A194: D81A5F00 00003A14
	ds_write_b32 v20, v59 offset:24864                         // 00000000A19C: D81A6120 00003B14
	v_mfma_f32_16x16x16_bf16 v[200:203], v[134:135], v[172:173], v[200:203]// 00000000A1A4: D3E100C8 07235986
	v_mov_b32_dpp v18, v85 quad_perm:[1,0,3,2] row_mask:0xf bank_mask:0xf// 00000000A1AC: 7E2402FA FF00B155
	v_perm_b32 v61, v18, v85, v17                              // 00000000A1B4: D1ED003D 0446AB12
	v_mov_b32_dpp v18, v86 quad_perm:[1,0,3,2] row_mask:0xf bank_mask:0xf// 00000000A1BC: 7E2402FA FF00B156
	v_perm_b32 v62, v18, v86, v17                              // 00000000A1C4: D1ED003E 0446AD12
	v_mov_b32_dpp v18, v87 quad_perm:[1,0,3,2] row_mask:0xf bank_mask:0xf// 00000000A1CC: 7E2402FA FF00B157
	v_perm_b32 v63, v18, v87, v17                              // 00000000A1D4: D1ED003F 0446AF12
	v_mfma_f32_16x16x16_bf16 v[204:207], v[136:137], v[172:173], v[204:207]// 00000000A1DC: D3E100CC 07335988
	ds_write_b32 v20, v60 offset:26624                         // 00000000A1E4: D81A6800 00003C14
	ds_write_b32 v20, v61 offset:27168                         // 00000000A1EC: D81A6A20 00003D14
	ds_write_b32 v20, v62 offset:28928                         // 00000000A1F4: D81A7100 00003E14
	ds_write_b32 v20, v63 offset:29472                         // 00000000A1FC: D81A7320 00003F14
	v_mfma_f32_16x16x16_bf16 v[208:211], v[138:139], v[172:173], v[208:211]// 00000000A204: D3E100D0 0743598A
	v_mfma_f32_16x16x16_bf16 v[212:215], v[132:133], v[174:175], v[212:215]// 00000000A20C: D3E100D4 07535D84
	ds_write_b32 v15, v100 offset:4352                         // 00000000A214: D81A1100 0000640F
	ds_write_b32 v15, v101 offset:5408                         // 00000000A21C: D81A1520 0000650F
	v_mfma_f32_16x16x16_bf16 v[216:219], v[134:135], v[174:175], v[216:219]// 00000000A224: D3E100D8 07635D86
	v_mfma_f32_16x16x16_bf16 v[220:223], v[136:137], v[174:175], v[220:223]// 00000000A22C: D3E100DC 07735D88
	ds_write_b32 v15, v102 offset:6528                         // 00000000A234: D81A1980 0000660F
	ds_write_b32 v15, v103 offset:7584                         // 00000000A23C: D81A1DA0 0000670F
	v_mfma_f32_16x16x16_bf16 v[224:227], v[138:139], v[174:175], v[224:227]// 00000000A244: D3E100E0 07835D8A
	s_nop 0                                                    // 00000000A24C: BF800000
	s_nop 0                                                    // 00000000A250: BF800000
	s_nop 0                                                    // 00000000A254: BF800000
	s_barrier                                                  // 00000000A258: BF8A0000
	v_mfma_f32_16x16x16_bf16 a[112:115], a[96:97], v[76:77], a[112:115]// 00000000A25C: D3E18070 0DC29960
	ds_read_b32 v140, v23 offset:39424                         // 00000000A264: D86C9A00 8C000017
	ds_read_b32 v144, v23 offset:39488                         // 00000000A26C: D86C9A40 90000017
	ds_read_b32 v176, v23 offset:39680                         // 00000000A274: D86C9B00 B0000017
	ds_read_b32 v177, v23 offset:39744                         // 00000000A27C: D86C9B40 B1000017
	v_mfma_f32_16x16x16_bf16 a[116:119], a[98:99], v[76:77], a[116:119]// 00000000A284: D3E18074 0DD29962
	buffer_atomic_add_f32 v156, v6, s[32:35], 0 idxen          // 00000000A28C: E1342000 80089C06
	v_mfma_f32_16x16x16_bf16 a[120:123], a[100:101], v[76:77], a[120:123]// 00000000A294: D3E18078 0DE29964
	s_waitcnt lgkmcnt(8)                                       // 00000000A29C: BF8CC87F
	s_barrier                                                  // 00000000A2A0: BF8A0000
	v_mfma_f32_16x16x16_bf16 a[124:127], a[102:103], v[76:77], a[124:127]// 00000000A2A4: D3E1807C 0DF29966
	v_mfma_f32_16x16x16_bf16 a[128:131], a[96:97], v[78:79], a[128:131]// 00000000A2AC: D3E18080 0E029D60
	ds_read_b128 v[52:55], v19 offset:17408                    // 00000000A2B4: D9FE4400 34000013
	v_mfma_f32_16x16x16_bf16 a[132:135], a[98:99], v[78:79], a[132:135]// 00000000A2BC: D3E18084 0E129D62
	v_mfma_f32_16x16x16_bf16 a[136:139], a[100:101], v[78:79], a[136:139]// 00000000A2C4: D3E18088 0E229D64
	ds_read_b128 v[56:59], v19 offset:18560                    // 00000000A2CC: D9FE4880 38000013
	v_mfma_f32_16x16x16_bf16 a[140:143], a[102:103], v[78:79], a[140:143]// 00000000A2D4: D3E1808C 0E329D66
	buffer_atomic_add_f32 v157, v7, s[32:35], 0 idxen          // 00000000A2DC: E1342000 80089D07
	v_mfma_f32_16x16x16_bf16 a[144:147], a[96:97], v[80:81], a[144:147]// 00000000A2E4: D3E18090 0E42A160
	ds_read_b128 v[60:63], v19 offset:19712                    // 00000000A2EC: D9FE4D00 3C000013
	v_mfma_f32_16x16x16_bf16 a[148:151], a[98:99], v[80:81], a[148:151]// 00000000A2F4: D3E18094 0E52A162
	v_mfma_f32_16x16x16_bf16 a[152:155], a[100:101], v[80:81], a[152:155]// 00000000A2FC: D3E18098 0E62A164
	ds_read_b128 v[64:67], v19 offset:20864                    // 00000000A304: D9FE5180 40000013
	v_mfma_f32_16x16x16_bf16 a[156:159], a[102:103], v[80:81], a[156:159]// 00000000A30C: D3E1809C 0E72A166
	v_mfma_f32_16x16x16_bf16 a[112:115], a[104:105], v[82:83], a[112:115]// 00000000A314: D3E18070 0DC2A568
	ds_read_b128 v[68:71], v19 offset:22016                    // 00000000A31C: D9FE5600 44000013
	v_mfma_f32_16x16x16_bf16 a[116:119], a[106:107], v[82:83], a[116:119]// 00000000A324: D3E18074 0DD2A56A
	buffer_atomic_add_f32 v158, v6, s[32:35], 0 idxen offset:128// 00000000A32C: E1342080 80089E06
	v_mfma_f32_16x16x16_bf16 a[120:123], a[108:109], v[82:83], a[120:123]// 00000000A334: D3E18078 0DE2A56C
	ds_read_b128 v[72:75], v19 offset:23168                    // 00000000A33C: D9FE5A80 48000013
	v_mfma_f32_16x16x16_bf16 a[124:127], a[110:111], v[82:83], a[124:127]// 00000000A344: D3E1807C 0DF2A56E
	v_mfma_f32_16x16x16_bf16 a[128:131], a[104:105], v[84:85], a[128:131]// 00000000A34C: D3E18080 0E02A968
	ds_write_b32 v15, v104 offset:13056                        // 00000000A354: D81A3300 0000680F
	v_mfma_f32_16x16x16_bf16 a[132:135], a[106:107], v[84:85], a[132:135]// 00000000A35C: D3E18084 0E12A96A
	v_mfma_f32_16x16x16_bf16 a[136:139], a[108:109], v[84:85], a[136:139]// 00000000A364: D3E18088 0E22A96C
	ds_write_b32 v15, v105 offset:14112                        // 00000000A36C: D81A3720 0000690F
	v_mfma_f32_16x16x16_bf16 a[140:143], a[110:111], v[84:85], a[140:143]// 00000000A374: D3E1808C 0E32A96E
	buffer_atomic_add_f32 v159, v7, s[32:35], 0 idxen offset:128// 00000000A37C: E1342080 80089F07
	v_mfma_f32_16x16x16_bf16 a[144:147], a[104:105], v[86:87], a[144:147]// 00000000A384: D3E18090 0E42AD68
	ds_write_b32 v15, v106 offset:15232                        // 00000000A38C: D81A3B80 00006A0F
	v_mfma_f32_16x16x16_bf16 a[148:151], a[106:107], v[86:87], a[148:151]// 00000000A394: D3E18094 0E52AD6A
	v_mfma_f32_16x16x16_bf16 a[152:155], a[108:109], v[86:87], a[152:155]// 00000000A39C: D3E18098 0E62AD6C
	ds_write_b32 v15, v107 offset:16288                        // 00000000A3A4: D81A3FA0 00006B0F
	v_mfma_f32_16x16x16_bf16 a[156:159], a[110:111], v[86:87], a[156:159]// 00000000A3AC: D3E1809C 0E72AD6E
	s_waitcnt vmcnt(8) lgkmcnt(4)                              // 00000000A3B4: BF8C0478
	s_barrier                                                  // 00000000A3B8: BF8A0000
	v_mfma_f32_16x16x16_bf16 v[148:151], v[52:53], a[24:25], 0 // 00000000A3BC: D3E10094 12023134
	ds_read_b128 a[96:99], v12                                 // 00000000A3C4: DBFE0000 6000000C
	buffer_load_dword v36, v1, s[8:11], 0 idxen                // 00000000A3CC: E0502000 80022401
	v_mfma_f32_16x16x16_bf16 v[148:151], v[54:55], a[28:29], v[148:151]// 00000000A3D4: D3E10094 16523936
	v_mul_f32_e32 v140, s48, v140                              // 00000000A3DC: 0B191830
	v_mul_f32_e32 v144, s48, v144                              // 00000000A3E0: 0B212030
	s_nop 0                                                    // 00000000A3E4: BF800000
	v_mfma_f32_16x16x16_bf16 v[148:151], v[56:57], a[32:33], v[148:151]// 00000000A3E8: D3E10094 16524138
	ds_read_b128 a[100:103], v12 offset:512                    // 00000000A3F0: DBFE0200 6400000C
	buffer_load_dword v37, v2, s[8:11], 0 idxen                // 00000000A3F8: E0502000 80022502
	v_mfma_f32_16x16x16_bf16 v[148:151], v[58:59], a[36:37], v[148:151]// 00000000A400: D3E10094 1652493A
	v_mfma_f32_16x16x16_bf16 v[148:151], v[60:61], a[40:41], v[148:151]// 00000000A408: D3E10094 1652513C
	ds_read_b128 a[104:107], v12 offset:2176                   // 00000000A410: DBFE0880 6800000C
	buffer_load_dword v38, v3, s[8:11], 0 idxen                // 00000000A418: E0502000 80022603
	v_mfma_f32_16x16x16_bf16 v[148:151], v[62:63], a[44:45], v[148:151]// 00000000A420: D3E10094 1652593E
	v_perm_b32 v100, v41, v40, s63                             // 00000000A428: D1ED0064 00FE5129
	v_perm_b32 v101, v41, v40, s64                             // 00000000A430: D1ED0065 01025129
	v_mfma_f32_16x16x16_bf16 v[148:151], v[64:65], a[48:49], v[148:151]// 00000000A438: D3E10094 16526140
	ds_read_b128 a[108:111], v12 offset:2688                   // 00000000A440: DBFE0A80 6C00000C
	buffer_load_dword v39, v4, s[8:11], 0 idxen                // 00000000A448: E0502000 80022704
	v_mfma_f32_16x16x16_bf16 v[148:151], v[66:67], a[52:53], v[148:151]// 00000000A450: D3E10094 16526942
	v_perm_b32 v102, v43, v42, s63                             // 00000000A458: D1ED0066 00FE552B
	v_perm_b32 v103, v43, v42, s64                             // 00000000A460: D1ED0067 0102552B
	v_mfma_f32_16x16x16_bf16 v[148:151], v[68:69], a[56:57], v[148:151]// 00000000A468: D3E10094 16527144
	ds_read_b128 v[108:111], v12 offset:8704                   // 00000000A470: D9FE2200 6C00000C
	buffer_load_dword v44, v232, s[20:23], 0 idxen             // 00000000A478: E0502000 80052CE8
	v_mfma_f32_16x16x16_bf16 v[148:151], v[70:71], a[60:61], v[148:151]// 00000000A480: D3E10094 16527946
	v_perm_b32 v104, v49, v48, s63                             // 00000000A488: D1ED0068 00FE6131
	v_perm_b32 v105, v49, v48, s64                             // 00000000A490: D1ED0069 01026131
	v_mfma_f32_16x16x16_bf16 v[148:151], v[72:73], a[64:65], v[148:151]// 00000000A498: D3E10094 16528148
	ds_read_b128 v[112:115], v12 offset:9216                   // 00000000A4A0: D9FE2400 7000000C
	buffer_load_dword v45, v233, s[20:23], 0 idxen             // 00000000A4A8: E0502000 80052DE9
	v_mfma_f32_16x16x16_bf16 v[148:151], v[74:75], a[68:69], v[148:151]// 00000000A4B0: D3E10094 1652894A
	v_perm_b32 v106, v51, v50, s63                             // 00000000A4B8: D1ED006A 00FE6533
	v_perm_b32 v107, v51, v50, s64                             // 00000000A4C0: D1ED006B 01026533
	v_mfma_f32_16x16x16_bf16 v[152:155], v[52:53], a[26:27], 0 // 00000000A4C8: D3E10098 12023534
	ds_read_b128 v[116:119], v12 offset:10880                  // 00000000A4D0: D9FE2A80 7400000C
	buffer_load_dword v46, v234, s[20:23], 0 idxen             // 00000000A4D8: E0502000 80052EEA
	v_mfma_f32_16x16x16_bf16 v[152:155], v[54:55], a[30:31], v[152:155]// 00000000A4E0: D3E10098 16623D36
	v_mov_b32_dpp v143, v140 quad_perm:[3,3,3,3] row_mask:0xf bank_mask:0xf// 00000000A4E8: 7F1E02FA FF00FF8C
	v_mov_b32_dpp v142, v140 quad_perm:[2,2,2,2] row_mask:0xf bank_mask:0xf// 00000000A4F0: 7F1C02FA FF00AA8C
	v_mov_b32_dpp v141, v140 quad_perm:[1,1,1,1] row_mask:0xf bank_mask:0xf// 00000000A4F8: 7F1A02FA FF00558C
	v_mov_b32_dpp v140, v140 quad_perm:[0,0,0,0] row_mask:0xf bank_mask:0xf// 00000000A500: 7F1802FA FF00008C
	v_mfma_f32_16x16x16_bf16 v[152:155], v[56:57], a[34:35], v[152:155]// 00000000A508: D3E10098 16624538
	ds_read_b128 v[120:123], v12 offset:11392                  // 00000000A510: D9FE2C80 7800000C
	buffer_load_dword v47, v235, s[20:23], 0 idxen             // 00000000A518: E0502000 80052FEB
	v_mfma_f32_16x16x16_bf16 v[152:155], v[58:59], a[38:39], v[152:155]// 00000000A520: D3E10098 16624D3A
	v_mov_b32_dpp v147, v144 quad_perm:[3,3,3,3] row_mask:0xf bank_mask:0xf// 00000000A528: 7F2602FA FF00FF90
	v_mov_b32_dpp v146, v144 quad_perm:[2,2,2,2] row_mask:0xf bank_mask:0xf// 00000000A530: 7F2402FA FF00AA90
	v_mov_b32_dpp v145, v144 quad_perm:[1,1,1,1] row_mask:0xf bank_mask:0xf// 00000000A538: 7F2202FA FF005590
	v_mov_b32_dpp v144, v144 quad_perm:[0,0,0,0] row_mask:0xf bank_mask:0xf// 00000000A540: 7F2002FA FF000090
	s_add_u32 s60, 0x80, s59                                   // 00000000A548: 803C3BFF 00000080
	v_mfma_f32_16x16x16_bf16 v[152:155], v[60:61], a[42:43], v[152:155]// 00000000A550: D3E10098 1662553C
	buffer_load_dword v11, s[24:27], 0 idxen lds               // 00000000A558: E0512000 8006000B
	v_mfma_f32_16x16x16_bf16 v[152:155], v[62:63], a[46:47], v[152:155]// 00000000A560: D3E10098 16625D3E
	s_cmp_lt_u32 s60, s58                                      // 00000000A568: BF0A3A3C
	s_cselect_b32 s68, s68, 0                                  // 00000000A56C: 85448044
	s_cselect_b32 s99, s99, 0                                  // 00000000A570: 85638063
	s_cselect_b32 s69, s69, 0                                  // 00000000A574: 85458045
	v_mfma_f32_16x16x16_bf16 v[152:155], v[64:65], a[50:51], v[152:155]// 00000000A578: D3E10098 16626540
	v_add_u32_e32 v1, s68, v1                                  // 00000000A580: 68020244
	v_add_u32_e32 v2, s68, v2                                  // 00000000A584: 68040444
	v_add_u32_e32 v3, s68, v3                                  // 00000000A588: 68060644
	v_add_u32_e32 v4, s68, v4                                  // 00000000A58C: 68080844
	v_mfma_f32_16x16x16_bf16 v[152:155], v[66:67], a[54:55], v[152:155]// 00000000A590: D3E10098 16626D42
	v_add_u32_e32 v232, s99, v232                              // 00000000A598: 69D1D063
	v_add_u32_e32 v233, s99, v233                              // 00000000A59C: 69D3D263
	v_add_u32_e32 v234, s99, v234                              // 00000000A5A0: 69D5D463
	v_add_u32_e32 v235, s99, v235                              // 00000000A5A4: 69D7D663
	v_mfma_f32_16x16x16_bf16 v[152:155], v[68:69], a[58:59], v[152:155]// 00000000A5A8: D3E10098 16627544
	s_mov_b32 m0, s81                                          // 00000000A5B0: BEFC0051
	v_add_u32_e32 v11, s69, v11                                // 00000000A5B4: 68161645
	v_mfma_f32_16x16x16_bf16 v[152:155], v[70:71], a[62:63], v[152:155]// 00000000A5B8: D3E10098 16627D46
	s_cmp_ge_u32 s59, s73                                      // 00000000A5C0: BF09493B
	s_cselect_b32 s66, s67, s66                                // 00000000A5C4: 85424243
	v_mfma_f32_16x16x16_bf16 v[152:155], v[72:73], a[66:67], v[152:155]// 00000000A5C8: D3E10098 16628548
	s_addk_i32 s59, 0x20                                       // 00000000A5D0: B73B0020
	s_nop 0                                                    // 00000000A5D4: BF800000
	s_cmp_lt_i32 s59, s58                                      // 00000000A5D8: BF043A3B
	v_mfma_f32_16x16x16_bf16 v[152:155], v[74:75], a[70:71], v[152:155]// 00000000A5DC: D3E10098 16628D4A
	s_cbranch_scc0 label_1041                                  // 00000000A5E4: BF84F635
	s_branch label_1044                                        // 00000000A5E8: BF82F637

000000000000a5ec <label_1A1F>:
	buffer_atomic_add_f32 v160, v8, s[32:35], 0 idxen          // 00000000A5EC: E1342000 8008A008
	buffer_atomic_add_f32 v161, v9, s[32:35], 0 idxen          // 00000000A5F4: E1342000 8008A109
	buffer_atomic_add_f32 v162, v8, s[32:35], 0 idxen offset:128// 00000000A5FC: E1342080 8008A208
	buffer_atomic_add_f32 v163, v9, s[32:35], 0 idxen offset:128// 00000000A604: E1342080 8008A309
	v_add_u32_e32 v6, s66, v6                                  // 00000000A60C: 680C0C42
	v_add_u32_e32 v7, s66, v7                                  // 00000000A610: 680E0E42
	v_add_u32_e32 v8, s66, v8                                  // 00000000A614: 68101042
	v_add_u32_e32 v9, s66, v9                                  // 00000000A618: 68121242
	v_lshrrev_b32_e32 v32, 5, v0                               // 00000000A61C: 20400085
	v_mul_i32_i24_e32 v27, 0x44, v32                           // 00000000A620: 0C3640FF 00000044
	v_and_b32_e32 v32, 31, v0                                  // 00000000A628: 2640009F
	v_mul_i32_i24_e32 v33, 2, v32                              // 00000000A62C: 0C424082
	v_add_u32_e32 v27, v33, v27                                // 00000000A630: 68363721
	s_mul_i32 s60, s46, 0x220                                  // 00000000A634: 923CFF2E 00000220
	v_add_u32_e32 v27, s60, v27                                // 00000000A63C: 6836363C
	v_lshlrev_b32_e32 v27, 2, v27                              // 00000000A640: 24363682
	v_mul_f32_e32 v148, s47, v148                              // 00000000A644: 0B29282F
	v_mul_f32_e32 v149, s47, v149                              // 00000000A648: 0B2B2A2F
	v_mul_f32_e32 v150, s47, v150                              // 00000000A64C: 0B2D2C2F
	v_mul_f32_e32 v151, s47, v151                              // 00000000A650: 0B2F2E2F
	v_mul_f32_e32 v152, s47, v152                              // 00000000A654: 0B31302F
	v_mul_f32_e32 v153, s47, v153                              // 00000000A658: 0B33322F
	v_mul_f32_e32 v154, s47, v154                              // 00000000A65C: 0B35342F
	v_mul_f32_e32 v155, s47, v155                              // 00000000A660: 0B37362F
	ds_write_b64 v22, v[148:149] offset:31232                  // 00000000A664: D89A7A00 00009416
	ds_write_b64 v22, v[150:151] offset:31744                  // 00000000A66C: D89A7C00 00009616
	ds_write_b64 v22, v[152:153] offset:32256                  // 00000000A674: D89A7E00 00009816
	ds_write_b64 v22, v[154:155] offset:32768                  // 00000000A67C: D89A8000 00009A16
	s_waitcnt lgkmcnt(0)                                       // 00000000A684: BF8CC07F
	s_barrier                                                  // 00000000A688: BF8A0000
	ds_read_b64 v[156:157], v21 offset:31232                   // 00000000A68C: D8EC7A00 9C000015
	ds_read_b64 v[158:159], v21 offset:33280                   // 00000000A694: D8EC8200 9E000015
	ds_read_b64 v[160:161], v21 offset:35328                   // 00000000A69C: D8EC8A00 A0000015
	ds_read_b64 v[162:163], v21 offset:37376                   // 00000000A6A4: D8EC9200 A2000015
	s_waitcnt lgkmcnt(0)                                       // 00000000A6AC: BF8CC07F
	s_barrier                                                  // 00000000A6B0: BF8A0000
	buffer_atomic_add_f32 v156, v6, s[32:35], 0 idxen          // 00000000A6B4: E1342000 80089C06
	buffer_atomic_add_f32 v157, v7, s[32:35], 0 idxen          // 00000000A6BC: E1342000 80089D07
	buffer_atomic_add_f32 v158, v6, s[32:35], 0 idxen offset:128// 00000000A6C4: E1342080 80089E06
	buffer_atomic_add_f32 v159, v7, s[32:35], 0 idxen offset:128// 00000000A6CC: E1342080 80089F07
	buffer_atomic_add_f32 v160, v8, s[32:35], 0 idxen          // 00000000A6D4: E1342000 8008A008
	buffer_atomic_add_f32 v161, v9, s[32:35], 0 idxen          // 00000000A6DC: E1342000 8008A109
	buffer_atomic_add_f32 v162, v8, s[32:35], 0 idxen offset:128// 00000000A6E4: E1342080 8008A208
	buffer_atomic_add_f32 v163, v9, s[32:35], 0 idxen offset:128// 00000000A6EC: E1342080 8008A309
	v_lshrrev_b32_e32 v32, 3, v0                               // 00000000A6F4: 20400083
	v_mul_i32_i24_e32 v26, 2, v32                              // 00000000A6F8: 0C344082
	v_and_b32_e32 v32, 7, v0                                   // 00000000A6FC: 26400087
	v_mul_i32_i24_e32 v33, 0x44, v32                           // 00000000A700: 0C4240FF 00000044
	v_add_u32_e32 v26, v33, v26                                // 00000000A708: 68343521
	s_mul_i32 s60, s46, 0x220                                  // 00000000A70C: 923CFF2E 00000220
	v_add_u32_e32 v26, s60, v26                                // 00000000A714: 6834343C
	v_lshlrev_b32_e32 v26, 2, v26                              // 00000000A718: 24343482
	v_accvgpr_read_b32 v34, a112                               // 00000000A71C: D3D84022 18000170
	v_accvgpr_read_b32 v35, a113                               // 00000000A724: D3D84023 18000171
	v_mul_f32_e32 v34, s47, v34                                // 00000000A72C: 0A44442F
	v_mul_f32_e32 v35, s47, v35                                // 00000000A730: 0A46462F
	v_cmp_u_f32_e64 s[78:79], v34, v34                         // 00000000A734: D048004E 00024522
	v_bfe_u32 v228, v34, 16, 1                                 // 00000000A73C: D1C800E4 02052122
	v_add3_u32 v228, v34, v228, v231                           // 00000000A744: D1FF00E4 079FC922
	v_cndmask_b32_e64 v32, v228, v230, s[78:79]                // 00000000A74C: D1000020 013BCDE4
	v_lshrrev_b32_e32 v32, 16, v32                             // 00000000A754: 20404090
	v_cmp_u_f32_e64 s[78:79], v35, v35                         // 00000000A758: D048004E 00024723
	v_bfe_u32 v228, v35, 16, 1                                 // 00000000A760: D1C800E4 02052123
	v_add3_u32 v228, v35, v228, v231                           // 00000000A768: D1FF00E4 079FC923
	v_cndmask_b32_e64 v33, v228, v230, s[78:79]                // 00000000A770: D1000021 013BCDE4
	v_and_or_b32 v52, v33, v229, v32                           // 00000000A778: D2010034 0483CB21
	v_accvgpr_read_b32 v34, a114                               // 00000000A780: D3D84022 18000172
	v_accvgpr_read_b32 v35, a115                               // 00000000A788: D3D84023 18000173
	v_mul_f32_e32 v34, s47, v34                                // 00000000A790: 0A44442F
	v_mul_f32_e32 v35, s47, v35                                // 00000000A794: 0A46462F
	v_cmp_u_f32_e64 s[78:79], v34, v34                         // 00000000A798: D048004E 00024522
	v_bfe_u32 v228, v34, 16, 1                                 // 00000000A7A0: D1C800E4 02052122
	v_add3_u32 v228, v34, v228, v231                           // 00000000A7A8: D1FF00E4 079FC922
	v_cndmask_b32_e64 v32, v228, v230, s[78:79]                // 00000000A7B0: D1000020 013BCDE4
	v_lshrrev_b32_e32 v32, 16, v32                             // 00000000A7B8: 20404090
	v_cmp_u_f32_e64 s[78:79], v35, v35                         // 00000000A7BC: D048004E 00024723
	v_bfe_u32 v228, v35, 16, 1                                 // 00000000A7C4: D1C800E4 02052123
	v_add3_u32 v228, v35, v228, v231                           // 00000000A7CC: D1FF00E4 079FC923
	v_cndmask_b32_e64 v33, v228, v230, s[78:79]                // 00000000A7D4: D1000021 013BCDE4
	v_and_or_b32 v53, v33, v229, v32                           // 00000000A7DC: D2010035 0483CB21
	v_accvgpr_read_b32 v34, a116                               // 00000000A7E4: D3D84022 18000174
	v_accvgpr_read_b32 v35, a117                               // 00000000A7EC: D3D84023 18000175
	v_mul_f32_e32 v34, s47, v34                                // 00000000A7F4: 0A44442F
	v_mul_f32_e32 v35, s47, v35                                // 00000000A7F8: 0A46462F
	v_cmp_u_f32_e64 s[78:79], v34, v34                         // 00000000A7FC: D048004E 00024522
	v_bfe_u32 v228, v34, 16, 1                                 // 00000000A804: D1C800E4 02052122
	v_add3_u32 v228, v34, v228, v231                           // 00000000A80C: D1FF00E4 079FC922
	v_cndmask_b32_e64 v32, v228, v230, s[78:79]                // 00000000A814: D1000020 013BCDE4
	v_lshrrev_b32_e32 v32, 16, v32                             // 00000000A81C: 20404090
	v_cmp_u_f32_e64 s[78:79], v35, v35                         // 00000000A820: D048004E 00024723
	v_bfe_u32 v228, v35, 16, 1                                 // 00000000A828: D1C800E4 02052123
	v_add3_u32 v228, v35, v228, v231                           // 00000000A830: D1FF00E4 079FC923
	v_cndmask_b32_e64 v33, v228, v230, s[78:79]                // 00000000A838: D1000021 013BCDE4
	v_and_or_b32 v54, v33, v229, v32                           // 00000000A840: D2010036 0483CB21
	v_accvgpr_read_b32 v34, a118                               // 00000000A848: D3D84022 18000176
	v_accvgpr_read_b32 v35, a119                               // 00000000A850: D3D84023 18000177
	v_mul_f32_e32 v34, s47, v34                                // 00000000A858: 0A44442F
	v_mul_f32_e32 v35, s47, v35                                // 00000000A85C: 0A46462F
	v_cmp_u_f32_e64 s[78:79], v34, v34                         // 00000000A860: D048004E 00024522
	v_bfe_u32 v228, v34, 16, 1                                 // 00000000A868: D1C800E4 02052122
	v_add3_u32 v228, v34, v228, v231                           // 00000000A870: D1FF00E4 079FC922
	v_cndmask_b32_e64 v32, v228, v230, s[78:79]                // 00000000A878: D1000020 013BCDE4
	v_lshrrev_b32_e32 v32, 16, v32                             // 00000000A880: 20404090
	v_cmp_u_f32_e64 s[78:79], v35, v35                         // 00000000A884: D048004E 00024723
	v_bfe_u32 v228, v35, 16, 1                                 // 00000000A88C: D1C800E4 02052123
	v_add3_u32 v228, v35, v228, v231                           // 00000000A894: D1FF00E4 079FC923
	v_cndmask_b32_e64 v33, v228, v230, s[78:79]                // 00000000A89C: D1000021 013BCDE4
	v_and_or_b32 v55, v33, v229, v32                           // 00000000A8A4: D2010037 0483CB21
	v_accvgpr_read_b32 v34, a120                               // 00000000A8AC: D3D84022 18000178
	v_accvgpr_read_b32 v35, a121                               // 00000000A8B4: D3D84023 18000179
	v_mul_f32_e32 v34, s47, v34                                // 00000000A8BC: 0A44442F
	v_mul_f32_e32 v35, s47, v35                                // 00000000A8C0: 0A46462F
	v_cmp_u_f32_e64 s[78:79], v34, v34                         // 00000000A8C4: D048004E 00024522
	v_bfe_u32 v228, v34, 16, 1                                 // 00000000A8CC: D1C800E4 02052122
	v_add3_u32 v228, v34, v228, v231                           // 00000000A8D4: D1FF00E4 079FC922
	v_cndmask_b32_e64 v32, v228, v230, s[78:79]                // 00000000A8DC: D1000020 013BCDE4
	v_lshrrev_b32_e32 v32, 16, v32                             // 00000000A8E4: 20404090
	v_cmp_u_f32_e64 s[78:79], v35, v35                         // 00000000A8E8: D048004E 00024723
	v_bfe_u32 v228, v35, 16, 1                                 // 00000000A8F0: D1C800E4 02052123
	v_add3_u32 v228, v35, v228, v231                           // 00000000A8F8: D1FF00E4 079FC923
	v_cndmask_b32_e64 v33, v228, v230, s[78:79]                // 00000000A900: D1000021 013BCDE4
	v_and_or_b32 v56, v33, v229, v32                           // 00000000A908: D2010038 0483CB21
	v_accvgpr_read_b32 v34, a122                               // 00000000A910: D3D84022 1800017A
	v_accvgpr_read_b32 v35, a123                               // 00000000A918: D3D84023 1800017B
	v_mul_f32_e32 v34, s47, v34                                // 00000000A920: 0A44442F
	v_mul_f32_e32 v35, s47, v35                                // 00000000A924: 0A46462F
	v_cmp_u_f32_e64 s[78:79], v34, v34                         // 00000000A928: D048004E 00024522
	v_bfe_u32 v228, v34, 16, 1                                 // 00000000A930: D1C800E4 02052122
	v_add3_u32 v228, v34, v228, v231                           // 00000000A938: D1FF00E4 079FC922
	v_cndmask_b32_e64 v32, v228, v230, s[78:79]                // 00000000A940: D1000020 013BCDE4
	v_lshrrev_b32_e32 v32, 16, v32                             // 00000000A948: 20404090
	v_cmp_u_f32_e64 s[78:79], v35, v35                         // 00000000A94C: D048004E 00024723
	v_bfe_u32 v228, v35, 16, 1                                 // 00000000A954: D1C800E4 02052123
	v_add3_u32 v228, v35, v228, v231                           // 00000000A95C: D1FF00E4 079FC923
	v_cndmask_b32_e64 v33, v228, v230, s[78:79]                // 00000000A964: D1000021 013BCDE4
	v_and_or_b32 v57, v33, v229, v32                           // 00000000A96C: D2010039 0483CB21
	v_accvgpr_read_b32 v34, a124                               // 00000000A974: D3D84022 1800017C
	v_accvgpr_read_b32 v35, a125                               // 00000000A97C: D3D84023 1800017D
	v_mul_f32_e32 v34, s47, v34                                // 00000000A984: 0A44442F
	v_mul_f32_e32 v35, s47, v35                                // 00000000A988: 0A46462F
	v_cmp_u_f32_e64 s[78:79], v34, v34                         // 00000000A98C: D048004E 00024522
	v_bfe_u32 v228, v34, 16, 1                                 // 00000000A994: D1C800E4 02052122
	v_add3_u32 v228, v34, v228, v231                           // 00000000A99C: D1FF00E4 079FC922
	v_cndmask_b32_e64 v32, v228, v230, s[78:79]                // 00000000A9A4: D1000020 013BCDE4
	v_lshrrev_b32_e32 v32, 16, v32                             // 00000000A9AC: 20404090
	v_cmp_u_f32_e64 s[78:79], v35, v35                         // 00000000A9B0: D048004E 00024723
	v_bfe_u32 v228, v35, 16, 1                                 // 00000000A9B8: D1C800E4 02052123
	v_add3_u32 v228, v35, v228, v231                           // 00000000A9C0: D1FF00E4 079FC923
	v_cndmask_b32_e64 v33, v228, v230, s[78:79]                // 00000000A9C8: D1000021 013BCDE4
	v_and_or_b32 v58, v33, v229, v32                           // 00000000A9D0: D201003A 0483CB21
	v_accvgpr_read_b32 v34, a126                               // 00000000A9D8: D3D84022 1800017E
	v_accvgpr_read_b32 v35, a127                               // 00000000A9E0: D3D84023 1800017F
	v_mul_f32_e32 v34, s47, v34                                // 00000000A9E8: 0A44442F
	v_mul_f32_e32 v35, s47, v35                                // 00000000A9EC: 0A46462F
	v_cmp_u_f32_e64 s[78:79], v34, v34                         // 00000000A9F0: D048004E 00024522
	v_bfe_u32 v228, v34, 16, 1                                 // 00000000A9F8: D1C800E4 02052122
	v_add3_u32 v228, v34, v228, v231                           // 00000000AA00: D1FF00E4 079FC922
	v_cndmask_b32_e64 v32, v228, v230, s[78:79]                // 00000000AA08: D1000020 013BCDE4
	v_lshrrev_b32_e32 v32, 16, v32                             // 00000000AA10: 20404090
	v_cmp_u_f32_e64 s[78:79], v35, v35                         // 00000000AA14: D048004E 00024723
	v_bfe_u32 v228, v35, 16, 1                                 // 00000000AA1C: D1C800E4 02052123
	v_add3_u32 v228, v35, v228, v231                           // 00000000AA24: D1FF00E4 079FC923
	v_cndmask_b32_e64 v33, v228, v230, s[78:79]                // 00000000AA2C: D1000021 013BCDE4
	v_and_or_b32 v59, v33, v229, v32                           // 00000000AA34: D201003B 0483CB21
	ds_write_b64 v27, v[52:53]                                 // 00000000AA3C: D89A0000 0000341B
	ds_write_b64 v27, v[54:55] offset:544                      // 00000000AA44: D89A0220 0000361B
	ds_write_b64 v27, v[56:57] offset:1088                     // 00000000AA4C: D89A0440 0000381B
	ds_write_b64 v27, v[58:59] offset:1632                     // 00000000AA54: D89A0660 00003A1B
	s_waitcnt lgkmcnt(0)                                       // 00000000AA5C: BF8CC07F
	s_barrier                                                  // 00000000AA60: BF8A0000
	ds_read_b64 v[52:53], v26                                  // 00000000AA64: D8EC0000 3400001A
	ds_read_b64 v[54:55], v26 offset:128                       // 00000000AA6C: D8EC0080 3600001A
	ds_read_b64 v[56:57], v26 offset:64                        // 00000000AA74: D8EC0040 3800001A
	ds_read_b64 v[58:59], v26 offset:192                       // 00000000AA7C: D8EC00C0 3A00001A
	s_waitcnt lgkmcnt(0)                                       // 00000000AA84: BF8CC07F
	s_mov_b32 s70, s52                                         // 00000000AA88: BEC60034
	buffer_store_dwordx4 v[52:55], v5, s[36:39], 0 idxen       // 00000000AA8C: E07C2000 80093405
	s_mul_i32 s60, 2, s70                                      // 00000000AA94: 923C4682
	v_add_u32_e32 v5, s60, v5                                  // 00000000AA98: 680A0A3C
	buffer_store_dwordx4 v[56:59], v5, s[36:39], 0 idxen       // 00000000AA9C: E07C2000 80093805
	s_mul_i32 s60, 2, s70                                      // 00000000AAA4: 923C4682
	v_add_u32_e32 v5, s60, v5                                  // 00000000AAA8: 680A0A3C
	s_mul_i32 s60, 12, s70                                     // 00000000AAAC: 923C468C
	v_add_u32_e32 v5, s60, v5                                  // 00000000AAB0: 680A0A3C
	s_barrier                                                  // 00000000AAB4: BF8A0000
	s_cmp_ge_i32 1, s72                                        // 00000000AAB8: BF034881
	s_cbranch_scc1 label_1D26                                  // 00000000AABC: BF8501D2
	v_accvgpr_read_b32 v34, a128                               // 00000000AAC0: D3D84022 18000180
	v_accvgpr_read_b32 v35, a129                               // 00000000AAC8: D3D84023 18000181
	v_mul_f32_e32 v34, s47, v34                                // 00000000AAD0: 0A44442F
	v_mul_f32_e32 v35, s47, v35                                // 00000000AAD4: 0A46462F
	v_cmp_u_f32_e64 s[78:79], v34, v34                         // 00000000AAD8: D048004E 00024522
	v_bfe_u32 v228, v34, 16, 1                                 // 00000000AAE0: D1C800E4 02052122
	v_add3_u32 v228, v34, v228, v231                           // 00000000AAE8: D1FF00E4 079FC922
	v_cndmask_b32_e64 v32, v228, v230, s[78:79]                // 00000000AAF0: D1000020 013BCDE4
	v_lshrrev_b32_e32 v32, 16, v32                             // 00000000AAF8: 20404090
	v_cmp_u_f32_e64 s[78:79], v35, v35                         // 00000000AAFC: D048004E 00024723
	v_bfe_u32 v228, v35, 16, 1                                 // 00000000AB04: D1C800E4 02052123
	v_add3_u32 v228, v35, v228, v231                           // 00000000AB0C: D1FF00E4 079FC923
	v_cndmask_b32_e64 v33, v228, v230, s[78:79]                // 00000000AB14: D1000021 013BCDE4
	v_and_or_b32 v60, v33, v229, v32                           // 00000000AB1C: D201003C 0483CB21
	v_accvgpr_read_b32 v34, a130                               // 00000000AB24: D3D84022 18000182
	v_accvgpr_read_b32 v35, a131                               // 00000000AB2C: D3D84023 18000183
	v_mul_f32_e32 v34, s47, v34                                // 00000000AB34: 0A44442F
	v_mul_f32_e32 v35, s47, v35                                // 00000000AB38: 0A46462F
	v_cmp_u_f32_e64 s[78:79], v34, v34                         // 00000000AB3C: D048004E 00024522
	v_bfe_u32 v228, v34, 16, 1                                 // 00000000AB44: D1C800E4 02052122
	v_add3_u32 v228, v34, v228, v231                           // 00000000AB4C: D1FF00E4 079FC922
	v_cndmask_b32_e64 v32, v228, v230, s[78:79]                // 00000000AB54: D1000020 013BCDE4
	v_lshrrev_b32_e32 v32, 16, v32                             // 00000000AB5C: 20404090
	v_cmp_u_f32_e64 s[78:79], v35, v35                         // 00000000AB60: D048004E 00024723
	v_bfe_u32 v228, v35, 16, 1                                 // 00000000AB68: D1C800E4 02052123
	v_add3_u32 v228, v35, v228, v231                           // 00000000AB70: D1FF00E4 079FC923
	v_cndmask_b32_e64 v33, v228, v230, s[78:79]                // 00000000AB78: D1000021 013BCDE4
	v_and_or_b32 v61, v33, v229, v32                           // 00000000AB80: D201003D 0483CB21
	v_accvgpr_read_b32 v34, a132                               // 00000000AB88: D3D84022 18000184
	v_accvgpr_read_b32 v35, a133                               // 00000000AB90: D3D84023 18000185
	v_mul_f32_e32 v34, s47, v34                                // 00000000AB98: 0A44442F
	v_mul_f32_e32 v35, s47, v35                                // 00000000AB9C: 0A46462F
	v_cmp_u_f32_e64 s[78:79], v34, v34                         // 00000000ABA0: D048004E 00024522
	v_bfe_u32 v228, v34, 16, 1                                 // 00000000ABA8: D1C800E4 02052122
	v_add3_u32 v228, v34, v228, v231                           // 00000000ABB0: D1FF00E4 079FC922
	v_cndmask_b32_e64 v32, v228, v230, s[78:79]                // 00000000ABB8: D1000020 013BCDE4
	v_lshrrev_b32_e32 v32, 16, v32                             // 00000000ABC0: 20404090
	v_cmp_u_f32_e64 s[78:79], v35, v35                         // 00000000ABC4: D048004E 00024723
	v_bfe_u32 v228, v35, 16, 1                                 // 00000000ABCC: D1C800E4 02052123
	v_add3_u32 v228, v35, v228, v231                           // 00000000ABD4: D1FF00E4 079FC923
	v_cndmask_b32_e64 v33, v228, v230, s[78:79]                // 00000000ABDC: D1000021 013BCDE4
	v_and_or_b32 v62, v33, v229, v32                           // 00000000ABE4: D201003E 0483CB21
	v_accvgpr_read_b32 v34, a134                               // 00000000ABEC: D3D84022 18000186
	v_accvgpr_read_b32 v35, a135                               // 00000000ABF4: D3D84023 18000187
	v_mul_f32_e32 v34, s47, v34                                // 00000000ABFC: 0A44442F
	v_mul_f32_e32 v35, s47, v35                                // 00000000AC00: 0A46462F
	v_cmp_u_f32_e64 s[78:79], v34, v34                         // 00000000AC04: D048004E 00024522
	v_bfe_u32 v228, v34, 16, 1                                 // 00000000AC0C: D1C800E4 02052122
	v_add3_u32 v228, v34, v228, v231                           // 00000000AC14: D1FF00E4 079FC922
	v_cndmask_b32_e64 v32, v228, v230, s[78:79]                // 00000000AC1C: D1000020 013BCDE4
	v_lshrrev_b32_e32 v32, 16, v32                             // 00000000AC24: 20404090
	v_cmp_u_f32_e64 s[78:79], v35, v35                         // 00000000AC28: D048004E 00024723
	v_bfe_u32 v228, v35, 16, 1                                 // 00000000AC30: D1C800E4 02052123
	v_add3_u32 v228, v35, v228, v231                           // 00000000AC38: D1FF00E4 079FC923
	v_cndmask_b32_e64 v33, v228, v230, s[78:79]                // 00000000AC40: D1000021 013BCDE4
	v_and_or_b32 v63, v33, v229, v32                           // 00000000AC48: D201003F 0483CB21
	v_accvgpr_read_b32 v34, a136                               // 00000000AC50: D3D84022 18000188
	v_accvgpr_read_b32 v35, a137                               // 00000000AC58: D3D84023 18000189
	v_mul_f32_e32 v34, s47, v34                                // 00000000AC60: 0A44442F
	v_mul_f32_e32 v35, s47, v35                                // 00000000AC64: 0A46462F
	v_cmp_u_f32_e64 s[78:79], v34, v34                         // 00000000AC68: D048004E 00024522
	v_bfe_u32 v228, v34, 16, 1                                 // 00000000AC70: D1C800E4 02052122
	v_add3_u32 v228, v34, v228, v231                           // 00000000AC78: D1FF00E4 079FC922
	v_cndmask_b32_e64 v32, v228, v230, s[78:79]                // 00000000AC80: D1000020 013BCDE4
	v_lshrrev_b32_e32 v32, 16, v32                             // 00000000AC88: 20404090
	v_cmp_u_f32_e64 s[78:79], v35, v35                         // 00000000AC8C: D048004E 00024723
	v_bfe_u32 v228, v35, 16, 1                                 // 00000000AC94: D1C800E4 02052123
	v_add3_u32 v228, v35, v228, v231                           // 00000000AC9C: D1FF00E4 079FC923
	v_cndmask_b32_e64 v33, v228, v230, s[78:79]                // 00000000ACA4: D1000021 013BCDE4
	v_and_or_b32 v64, v33, v229, v32                           // 00000000ACAC: D2010040 0483CB21
	v_accvgpr_read_b32 v34, a138                               // 00000000ACB4: D3D84022 1800018A
	v_accvgpr_read_b32 v35, a139                               // 00000000ACBC: D3D84023 1800018B
	v_mul_f32_e32 v34, s47, v34                                // 00000000ACC4: 0A44442F
	v_mul_f32_e32 v35, s47, v35                                // 00000000ACC8: 0A46462F
	v_cmp_u_f32_e64 s[78:79], v34, v34                         // 00000000ACCC: D048004E 00024522
	v_bfe_u32 v228, v34, 16, 1                                 // 00000000ACD4: D1C800E4 02052122
	v_add3_u32 v228, v34, v228, v231                           // 00000000ACDC: D1FF00E4 079FC922
	v_cndmask_b32_e64 v32, v228, v230, s[78:79]                // 00000000ACE4: D1000020 013BCDE4
	v_lshrrev_b32_e32 v32, 16, v32                             // 00000000ACEC: 20404090
	v_cmp_u_f32_e64 s[78:79], v35, v35                         // 00000000ACF0: D048004E 00024723
	v_bfe_u32 v228, v35, 16, 1                                 // 00000000ACF8: D1C800E4 02052123
	v_add3_u32 v228, v35, v228, v231                           // 00000000AD00: D1FF00E4 079FC923
	v_cndmask_b32_e64 v33, v228, v230, s[78:79]                // 00000000AD08: D1000021 013BCDE4
	v_and_or_b32 v65, v33, v229, v32                           // 00000000AD10: D2010041 0483CB21
	v_accvgpr_read_b32 v34, a140                               // 00000000AD18: D3D84022 1800018C
	v_accvgpr_read_b32 v35, a141                               // 00000000AD20: D3D84023 1800018D
	v_mul_f32_e32 v34, s47, v34                                // 00000000AD28: 0A44442F
	v_mul_f32_e32 v35, s47, v35                                // 00000000AD2C: 0A46462F
	v_cmp_u_f32_e64 s[78:79], v34, v34                         // 00000000AD30: D048004E 00024522
	v_bfe_u32 v228, v34, 16, 1                                 // 00000000AD38: D1C800E4 02052122
	v_add3_u32 v228, v34, v228, v231                           // 00000000AD40: D1FF00E4 079FC922
	v_cndmask_b32_e64 v32, v228, v230, s[78:79]                // 00000000AD48: D1000020 013BCDE4
	v_lshrrev_b32_e32 v32, 16, v32                             // 00000000AD50: 20404090
	v_cmp_u_f32_e64 s[78:79], v35, v35                         // 00000000AD54: D048004E 00024723
	v_bfe_u32 v228, v35, 16, 1                                 // 00000000AD5C: D1C800E4 02052123
	v_add3_u32 v228, v35, v228, v231                           // 00000000AD64: D1FF00E4 079FC923
	v_cndmask_b32_e64 v33, v228, v230, s[78:79]                // 00000000AD6C: D1000021 013BCDE4
	v_and_or_b32 v66, v33, v229, v32                           // 00000000AD74: D2010042 0483CB21
	v_accvgpr_read_b32 v34, a142                               // 00000000AD7C: D3D84022 1800018E
	v_accvgpr_read_b32 v35, a143                               // 00000000AD84: D3D84023 1800018F
	v_mul_f32_e32 v34, s47, v34                                // 00000000AD8C: 0A44442F
	v_mul_f32_e32 v35, s47, v35                                // 00000000AD90: 0A46462F
	v_cmp_u_f32_e64 s[78:79], v34, v34                         // 00000000AD94: D048004E 00024522
	v_bfe_u32 v228, v34, 16, 1                                 // 00000000AD9C: D1C800E4 02052122
	v_add3_u32 v228, v34, v228, v231                           // 00000000ADA4: D1FF00E4 079FC922
	v_cndmask_b32_e64 v32, v228, v230, s[78:79]                // 00000000ADAC: D1000020 013BCDE4
	v_lshrrev_b32_e32 v32, 16, v32                             // 00000000ADB4: 20404090
	v_cmp_u_f32_e64 s[78:79], v35, v35                         // 00000000ADB8: D048004E 00024723
	v_bfe_u32 v228, v35, 16, 1                                 // 00000000ADC0: D1C800E4 02052123
	v_add3_u32 v228, v35, v228, v231                           // 00000000ADC8: D1FF00E4 079FC923
	v_cndmask_b32_e64 v33, v228, v230, s[78:79]                // 00000000ADD0: D1000021 013BCDE4
	v_and_or_b32 v67, v33, v229, v32                           // 00000000ADD8: D2010043 0483CB21
	ds_write_b64 v27, v[60:61] offset:8704                     // 00000000ADE0: D89A2200 00003C1B
	ds_write_b64 v27, v[62:63] offset:9248                     // 00000000ADE8: D89A2420 00003E1B
	ds_write_b64 v27, v[64:65] offset:9792                     // 00000000ADF0: D89A2640 0000401B
	ds_write_b64 v27, v[66:67] offset:10336                    // 00000000ADF8: D89A2860 0000421B
	s_waitcnt lgkmcnt(0)                                       // 00000000AE00: BF8CC07F
	s_barrier                                                  // 00000000AE04: BF8A0000
	ds_read_b64 v[60:61], v26 offset:8704                      // 00000000AE08: D8EC2200 3C00001A
	ds_read_b64 v[62:63], v26 offset:8832                      // 00000000AE10: D8EC2280 3E00001A
	ds_read_b64 v[64:65], v26 offset:8768                      // 00000000AE18: D8EC2240 4000001A
	ds_read_b64 v[66:67], v26 offset:8896                      // 00000000AE20: D8EC22C0 4200001A
	s_waitcnt lgkmcnt(0)                                       // 00000000AE28: BF8CC07F
	s_mov_b32 s70, s52                                         // 00000000AE2C: BEC60034
	buffer_store_dwordx4 v[60:63], v5, s[36:39], 0 idxen       // 00000000AE30: E07C2000 80093C05
	s_mul_i32 s60, 2, s70                                      // 00000000AE38: 923C4682
	v_add_u32_e32 v5, s60, v5                                  // 00000000AE3C: 680A0A3C
	buffer_store_dwordx4 v[64:67], v5, s[36:39], 0 idxen       // 00000000AE40: E07C2000 80094005
	s_mul_i32 s60, 2, s70                                      // 00000000AE48: 923C4682
	v_add_u32_e32 v5, s60, v5                                  // 00000000AE4C: 680A0A3C
	s_mul_i32 s60, 12, s70                                     // 00000000AE50: 923C468C
	v_add_u32_e32 v5, s60, v5                                  // 00000000AE54: 680A0A3C
	s_barrier                                                  // 00000000AE58: BF8A0000
	s_cmp_ge_i32 2, s72                                        // 00000000AE5C: BF034882
	s_cbranch_scc1 label_1D26                                  // 00000000AE60: BF8500E9
	v_accvgpr_read_b32 v34, a144                               // 00000000AE64: D3D84022 18000190
	v_accvgpr_read_b32 v35, a145                               // 00000000AE6C: D3D84023 18000191
	v_mul_f32_e32 v34, s47, v34                                // 00000000AE74: 0A44442F
	v_mul_f32_e32 v35, s47, v35                                // 00000000AE78: 0A46462F
	v_cmp_u_f32_e64 s[78:79], v34, v34                         // 00000000AE7C: D048004E 00024522
	v_bfe_u32 v228, v34, 16, 1                                 // 00000000AE84: D1C800E4 02052122
	v_add3_u32 v228, v34, v228, v231                           // 00000000AE8C: D1FF00E4 079FC922
	v_cndmask_b32_e64 v32, v228, v230, s[78:79]                // 00000000AE94: D1000020 013BCDE4
	v_lshrrev_b32_e32 v32, 16, v32                             // 00000000AE9C: 20404090
	v_cmp_u_f32_e64 s[78:79], v35, v35                         // 00000000AEA0: D048004E 00024723
	v_bfe_u32 v228, v35, 16, 1                                 // 00000000AEA8: D1C800E4 02052123
	v_add3_u32 v228, v35, v228, v231                           // 00000000AEB0: D1FF00E4 079FC923
	v_cndmask_b32_e64 v33, v228, v230, s[78:79]                // 00000000AEB8: D1000021 013BCDE4
	v_and_or_b32 v68, v33, v229, v32                           // 00000000AEC0: D2010044 0483CB21
	v_accvgpr_read_b32 v34, a146                               // 00000000AEC8: D3D84022 18000192
	v_accvgpr_read_b32 v35, a147                               // 00000000AED0: D3D84023 18000193
	v_mul_f32_e32 v34, s47, v34                                // 00000000AED8: 0A44442F
	v_mul_f32_e32 v35, s47, v35                                // 00000000AEDC: 0A46462F
	v_cmp_u_f32_e64 s[78:79], v34, v34                         // 00000000AEE0: D048004E 00024522
	v_bfe_u32 v228, v34, 16, 1                                 // 00000000AEE8: D1C800E4 02052122
	v_add3_u32 v228, v34, v228, v231                           // 00000000AEF0: D1FF00E4 079FC922
	v_cndmask_b32_e64 v32, v228, v230, s[78:79]                // 00000000AEF8: D1000020 013BCDE4
	v_lshrrev_b32_e32 v32, 16, v32                             // 00000000AF00: 20404090
	v_cmp_u_f32_e64 s[78:79], v35, v35                         // 00000000AF04: D048004E 00024723
	v_bfe_u32 v228, v35, 16, 1                                 // 00000000AF0C: D1C800E4 02052123
	v_add3_u32 v228, v35, v228, v231                           // 00000000AF14: D1FF00E4 079FC923
	v_cndmask_b32_e64 v33, v228, v230, s[78:79]                // 00000000AF1C: D1000021 013BCDE4
	v_and_or_b32 v69, v33, v229, v32                           // 00000000AF24: D2010045 0483CB21
	v_accvgpr_read_b32 v34, a148                               // 00000000AF2C: D3D84022 18000194
	v_accvgpr_read_b32 v35, a149                               // 00000000AF34: D3D84023 18000195
	v_mul_f32_e32 v34, s47, v34                                // 00000000AF3C: 0A44442F
	v_mul_f32_e32 v35, s47, v35                                // 00000000AF40: 0A46462F
	v_cmp_u_f32_e64 s[78:79], v34, v34                         // 00000000AF44: D048004E 00024522
	v_bfe_u32 v228, v34, 16, 1                                 // 00000000AF4C: D1C800E4 02052122
	v_add3_u32 v228, v34, v228, v231                           // 00000000AF54: D1FF00E4 079FC922
	v_cndmask_b32_e64 v32, v228, v230, s[78:79]                // 00000000AF5C: D1000020 013BCDE4
	v_lshrrev_b32_e32 v32, 16, v32                             // 00000000AF64: 20404090
	v_cmp_u_f32_e64 s[78:79], v35, v35                         // 00000000AF68: D048004E 00024723
	v_bfe_u32 v228, v35, 16, 1                                 // 00000000AF70: D1C800E4 02052123
	v_add3_u32 v228, v35, v228, v231                           // 00000000AF78: D1FF00E4 079FC923
	v_cndmask_b32_e64 v33, v228, v230, s[78:79]                // 00000000AF80: D1000021 013BCDE4
	v_and_or_b32 v70, v33, v229, v32                           // 00000000AF88: D2010046 0483CB21
	v_accvgpr_read_b32 v34, a150                               // 00000000AF90: D3D84022 18000196
	v_accvgpr_read_b32 v35, a151                               // 00000000AF98: D3D84023 18000197
	v_mul_f32_e32 v34, s47, v34                                // 00000000AFA0: 0A44442F
	v_mul_f32_e32 v35, s47, v35                                // 00000000AFA4: 0A46462F
	v_cmp_u_f32_e64 s[78:79], v34, v34                         // 00000000AFA8: D048004E 00024522
	v_bfe_u32 v228, v34, 16, 1                                 // 00000000AFB0: D1C800E4 02052122
	v_add3_u32 v228, v34, v228, v231                           // 00000000AFB8: D1FF00E4 079FC922
	v_cndmask_b32_e64 v32, v228, v230, s[78:79]                // 00000000AFC0: D1000020 013BCDE4
	v_lshrrev_b32_e32 v32, 16, v32                             // 00000000AFC8: 20404090
	v_cmp_u_f32_e64 s[78:79], v35, v35                         // 00000000AFCC: D048004E 00024723
	v_bfe_u32 v228, v35, 16, 1                                 // 00000000AFD4: D1C800E4 02052123
	v_add3_u32 v228, v35, v228, v231                           // 00000000AFDC: D1FF00E4 079FC923
	v_cndmask_b32_e64 v33, v228, v230, s[78:79]                // 00000000AFE4: D1000021 013BCDE4
	v_and_or_b32 v71, v33, v229, v32                           // 00000000AFEC: D2010047 0483CB21
	v_accvgpr_read_b32 v34, a152                               // 00000000AFF4: D3D84022 18000198
	v_accvgpr_read_b32 v35, a153                               // 00000000AFFC: D3D84023 18000199
	v_mul_f32_e32 v34, s47, v34                                // 00000000B004: 0A44442F
	v_mul_f32_e32 v35, s47, v35                                // 00000000B008: 0A46462F
	v_cmp_u_f32_e64 s[78:79], v34, v34                         // 00000000B00C: D048004E 00024522
	v_bfe_u32 v228, v34, 16, 1                                 // 00000000B014: D1C800E4 02052122
	v_add3_u32 v228, v34, v228, v231                           // 00000000B01C: D1FF00E4 079FC922
	v_cndmask_b32_e64 v32, v228, v230, s[78:79]                // 00000000B024: D1000020 013BCDE4
	v_lshrrev_b32_e32 v32, 16, v32                             // 00000000B02C: 20404090
	v_cmp_u_f32_e64 s[78:79], v35, v35                         // 00000000B030: D048004E 00024723
	v_bfe_u32 v228, v35, 16, 1                                 // 00000000B038: D1C800E4 02052123
	v_add3_u32 v228, v35, v228, v231                           // 00000000B040: D1FF00E4 079FC923
	v_cndmask_b32_e64 v33, v228, v230, s[78:79]                // 00000000B048: D1000021 013BCDE4
	v_and_or_b32 v72, v33, v229, v32                           // 00000000B050: D2010048 0483CB21
	v_accvgpr_read_b32 v34, a154                               // 00000000B058: D3D84022 1800019A
	v_accvgpr_read_b32 v35, a155                               // 00000000B060: D3D84023 1800019B
	v_mul_f32_e32 v34, s47, v34                                // 00000000B068: 0A44442F
	v_mul_f32_e32 v35, s47, v35                                // 00000000B06C: 0A46462F
	v_cmp_u_f32_e64 s[78:79], v34, v34                         // 00000000B070: D048004E 00024522
	v_bfe_u32 v228, v34, 16, 1                                 // 00000000B078: D1C800E4 02052122
	v_add3_u32 v228, v34, v228, v231                           // 00000000B080: D1FF00E4 079FC922
	v_cndmask_b32_e64 v32, v228, v230, s[78:79]                // 00000000B088: D1000020 013BCDE4
	v_lshrrev_b32_e32 v32, 16, v32                             // 00000000B090: 20404090
	v_cmp_u_f32_e64 s[78:79], v35, v35                         // 00000000B094: D048004E 00024723
	v_bfe_u32 v228, v35, 16, 1                                 // 00000000B09C: D1C800E4 02052123
	v_add3_u32 v228, v35, v228, v231                           // 00000000B0A4: D1FF00E4 079FC923
	v_cndmask_b32_e64 v33, v228, v230, s[78:79]                // 00000000B0AC: D1000021 013BCDE4
	v_and_or_b32 v73, v33, v229, v32                           // 00000000B0B4: D2010049 0483CB21
	v_accvgpr_read_b32 v34, a156                               // 00000000B0BC: D3D84022 1800019C
	v_accvgpr_read_b32 v35, a157                               // 00000000B0C4: D3D84023 1800019D
	v_mul_f32_e32 v34, s47, v34                                // 00000000B0CC: 0A44442F
	v_mul_f32_e32 v35, s47, v35                                // 00000000B0D0: 0A46462F
	v_cmp_u_f32_e64 s[78:79], v34, v34                         // 00000000B0D4: D048004E 00024522
	v_bfe_u32 v228, v34, 16, 1                                 // 00000000B0DC: D1C800E4 02052122
	v_add3_u32 v228, v34, v228, v231                           // 00000000B0E4: D1FF00E4 079FC922
	v_cndmask_b32_e64 v32, v228, v230, s[78:79]                // 00000000B0EC: D1000020 013BCDE4
	v_lshrrev_b32_e32 v32, 16, v32                             // 00000000B0F4: 20404090
	v_cmp_u_f32_e64 s[78:79], v35, v35                         // 00000000B0F8: D048004E 00024723
	v_bfe_u32 v228, v35, 16, 1                                 // 00000000B100: D1C800E4 02052123
	v_add3_u32 v228, v35, v228, v231                           // 00000000B108: D1FF00E4 079FC923
	v_cndmask_b32_e64 v33, v228, v230, s[78:79]                // 00000000B110: D1000021 013BCDE4
	v_and_or_b32 v74, v33, v229, v32                           // 00000000B118: D201004A 0483CB21
	v_accvgpr_read_b32 v34, a158                               // 00000000B120: D3D84022 1800019E
	v_accvgpr_read_b32 v35, a159                               // 00000000B128: D3D84023 1800019F
	v_mul_f32_e32 v34, s47, v34                                // 00000000B130: 0A44442F
	v_mul_f32_e32 v35, s47, v35                                // 00000000B134: 0A46462F
	v_cmp_u_f32_e64 s[78:79], v34, v34                         // 00000000B138: D048004E 00024522
	v_bfe_u32 v228, v34, 16, 1                                 // 00000000B140: D1C800E4 02052122
	v_add3_u32 v228, v34, v228, v231                           // 00000000B148: D1FF00E4 079FC922
	v_cndmask_b32_e64 v32, v228, v230, s[78:79]                // 00000000B150: D1000020 013BCDE4
	v_lshrrev_b32_e32 v32, 16, v32                             // 00000000B158: 20404090
	v_cmp_u_f32_e64 s[78:79], v35, v35                         // 00000000B15C: D048004E 00024723
	v_bfe_u32 v228, v35, 16, 1                                 // 00000000B164: D1C800E4 02052123
	v_add3_u32 v228, v35, v228, v231                           // 00000000B16C: D1FF00E4 079FC923
	v_cndmask_b32_e64 v33, v228, v230, s[78:79]                // 00000000B174: D1000021 013BCDE4
	v_and_or_b32 v75, v33, v229, v32                           // 00000000B17C: D201004B 0483CB21
	ds_write_b64 v27, v[68:69] offset:17408                    // 00000000B184: D89A4400 0000441B
	ds_write_b64 v27, v[70:71] offset:17952                    // 00000000B18C: D89A4620 0000461B
	ds_write_b64 v27, v[72:73] offset:18496                    // 00000000B194: D89A4840 0000481B
	ds_write_b64 v27, v[74:75] offset:19040                    // 00000000B19C: D89A4A60 00004A1B
	s_waitcnt lgkmcnt(0)                                       // 00000000B1A4: BF8CC07F
	s_barrier                                                  // 00000000B1A8: BF8A0000
	ds_read_b64 v[68:69], v26 offset:17408                     // 00000000B1AC: D8EC4400 4400001A
	ds_read_b64 v[70:71], v26 offset:17536                     // 00000000B1B4: D8EC4480 4600001A
	ds_read_b64 v[72:73], v26 offset:17472                     // 00000000B1BC: D8EC4440 4800001A
	ds_read_b64 v[74:75], v26 offset:17600                     // 00000000B1C4: D8EC44C0 4A00001A
	s_waitcnt lgkmcnt(0)                                       // 00000000B1CC: BF8CC07F
	s_mov_b32 s70, s52                                         // 00000000B1D0: BEC60034
	buffer_store_dwordx4 v[68:71], v5, s[36:39], 0 idxen       // 00000000B1D4: E07C2000 80094405
	s_mul_i32 s60, 2, s70                                      // 00000000B1DC: 923C4682
	v_add_u32_e32 v5, s60, v5                                  // 00000000B1E0: 680A0A3C
	buffer_store_dwordx4 v[72:75], v5, s[36:39], 0 idxen       // 00000000B1E4: E07C2000 80094805
	s_mul_i32 s60, 2, s70                                      // 00000000B1EC: 923C4682
	v_add_u32_e32 v5, s60, v5                                  // 00000000B1F0: 680A0A3C
	s_mul_i32 s60, 12, s70                                     // 00000000B1F4: 923C468C
	v_add_u32_e32 v5, s60, v5                                  // 00000000B1F8: 680A0A3C
	s_barrier                                                  // 00000000B1FC: BF8A0000
	s_cmp_ge_i32 3, s72                                        // 00000000B200: BF034883
	s_cbranch_scc1 label_1D26                                  // 00000000B204: BF850000

000000000000b208 <label_1D26>:
	v_mov_b32_e32 v34, v180                                    // 00000000B208: 7E4403B4
	v_mov_b32_e32 v35, v181                                    // 00000000B20C: 7E4603B5
	v_cmp_u_f32_e64 s[78:79], v34, v34                         // 00000000B210: D048004E 00024522
	v_bfe_u32 v228, v34, 16, 1                                 // 00000000B218: D1C800E4 02052122
	v_add3_u32 v228, v34, v228, v231                           // 00000000B220: D1FF00E4 079FC922
	v_cndmask_b32_e64 v32, v228, v230, s[78:79]                // 00000000B228: D1000020 013BCDE4
	v_lshrrev_b32_e32 v32, 16, v32                             // 00000000B230: 20404090
	v_cmp_u_f32_e64 s[78:79], v35, v35                         // 00000000B234: D048004E 00024723
	v_bfe_u32 v228, v35, 16, 1                                 // 00000000B23C: D1C800E4 02052123
	v_add3_u32 v228, v35, v228, v231                           // 00000000B244: D1FF00E4 079FC923
	v_cndmask_b32_e64 v33, v228, v230, s[78:79]                // 00000000B24C: D1000021 013BCDE4
	v_and_or_b32 v180, v33, v229, v32                          // 00000000B254: D20100B4 0483CB21
	v_mov_b32_e32 v34, v182                                    // 00000000B25C: 7E4403B6
	v_mov_b32_e32 v35, v183                                    // 00000000B260: 7E4603B7
	v_cmp_u_f32_e64 s[78:79], v34, v34                         // 00000000B264: D048004E 00024522
	v_bfe_u32 v228, v34, 16, 1                                 // 00000000B26C: D1C800E4 02052122
	v_add3_u32 v228, v34, v228, v231                           // 00000000B274: D1FF00E4 079FC922
	v_cndmask_b32_e64 v32, v228, v230, s[78:79]                // 00000000B27C: D1000020 013BCDE4
	v_lshrrev_b32_e32 v32, 16, v32                             // 00000000B284: 20404090
	v_cmp_u_f32_e64 s[78:79], v35, v35                         // 00000000B288: D048004E 00024723
	v_bfe_u32 v228, v35, 16, 1                                 // 00000000B290: D1C800E4 02052123
	v_add3_u32 v228, v35, v228, v231                           // 00000000B298: D1FF00E4 079FC923
	v_cndmask_b32_e64 v33, v228, v230, s[78:79]                // 00000000B2A0: D1000021 013BCDE4
	v_and_or_b32 v181, v33, v229, v32                          // 00000000B2A8: D20100B5 0483CB21
	v_mov_b32_e32 v34, v184                                    // 00000000B2B0: 7E4403B8
	v_mov_b32_e32 v35, v185                                    // 00000000B2B4: 7E4603B9
	v_cmp_u_f32_e64 s[78:79], v34, v34                         // 00000000B2B8: D048004E 00024522
	v_bfe_u32 v228, v34, 16, 1                                 // 00000000B2C0: D1C800E4 02052122
	v_add3_u32 v228, v34, v228, v231                           // 00000000B2C8: D1FF00E4 079FC922
	v_cndmask_b32_e64 v32, v228, v230, s[78:79]                // 00000000B2D0: D1000020 013BCDE4
	v_lshrrev_b32_e32 v32, 16, v32                             // 00000000B2D8: 20404090
	v_cmp_u_f32_e64 s[78:79], v35, v35                         // 00000000B2DC: D048004E 00024723
	v_bfe_u32 v228, v35, 16, 1                                 // 00000000B2E4: D1C800E4 02052123
	v_add3_u32 v228, v35, v228, v231                           // 00000000B2EC: D1FF00E4 079FC923
	v_cndmask_b32_e64 v33, v228, v230, s[78:79]                // 00000000B2F4: D1000021 013BCDE4
	v_and_or_b32 v182, v33, v229, v32                          // 00000000B2FC: D20100B6 0483CB21
	v_mov_b32_e32 v34, v186                                    // 00000000B304: 7E4403BA
	v_mov_b32_e32 v35, v187                                    // 00000000B308: 7E4603BB
	v_cmp_u_f32_e64 s[78:79], v34, v34                         // 00000000B30C: D048004E 00024522
	v_bfe_u32 v228, v34, 16, 1                                 // 00000000B314: D1C800E4 02052122
	v_add3_u32 v228, v34, v228, v231                           // 00000000B31C: D1FF00E4 079FC922
	v_cndmask_b32_e64 v32, v228, v230, s[78:79]                // 00000000B324: D1000020 013BCDE4
	v_lshrrev_b32_e32 v32, 16, v32                             // 00000000B32C: 20404090
	v_cmp_u_f32_e64 s[78:79], v35, v35                         // 00000000B330: D048004E 00024723
	v_bfe_u32 v228, v35, 16, 1                                 // 00000000B338: D1C800E4 02052123
	v_add3_u32 v228, v35, v228, v231                           // 00000000B340: D1FF00E4 079FC923
	v_cndmask_b32_e64 v33, v228, v230, s[78:79]                // 00000000B348: D1000021 013BCDE4
	v_and_or_b32 v183, v33, v229, v32                          // 00000000B350: D20100B7 0483CB21
	v_mov_b32_e32 v34, v188                                    // 00000000B358: 7E4403BC
	v_mov_b32_e32 v35, v189                                    // 00000000B35C: 7E4603BD
	v_cmp_u_f32_e64 s[78:79], v34, v34                         // 00000000B360: D048004E 00024522
	v_bfe_u32 v228, v34, 16, 1                                 // 00000000B368: D1C800E4 02052122
	v_add3_u32 v228, v34, v228, v231                           // 00000000B370: D1FF00E4 079FC922
	v_cndmask_b32_e64 v32, v228, v230, s[78:79]                // 00000000B378: D1000020 013BCDE4
	v_lshrrev_b32_e32 v32, 16, v32                             // 00000000B380: 20404090
	v_cmp_u_f32_e64 s[78:79], v35, v35                         // 00000000B384: D048004E 00024723
	v_bfe_u32 v228, v35, 16, 1                                 // 00000000B38C: D1C800E4 02052123
	v_add3_u32 v228, v35, v228, v231                           // 00000000B394: D1FF00E4 079FC923
	v_cndmask_b32_e64 v33, v228, v230, s[78:79]                // 00000000B39C: D1000021 013BCDE4
	v_and_or_b32 v184, v33, v229, v32                          // 00000000B3A4: D20100B8 0483CB21
	v_mov_b32_e32 v34, v190                                    // 00000000B3AC: 7E4403BE
	v_mov_b32_e32 v35, v191                                    // 00000000B3B0: 7E4603BF
	v_cmp_u_f32_e64 s[78:79], v34, v34                         // 00000000B3B4: D048004E 00024522
	v_bfe_u32 v228, v34, 16, 1                                 // 00000000B3BC: D1C800E4 02052122
	v_add3_u32 v228, v34, v228, v231                           // 00000000B3C4: D1FF00E4 079FC922
	v_cndmask_b32_e64 v32, v228, v230, s[78:79]                // 00000000B3CC: D1000020 013BCDE4
	v_lshrrev_b32_e32 v32, 16, v32                             // 00000000B3D4: 20404090
	v_cmp_u_f32_e64 s[78:79], v35, v35                         // 00000000B3D8: D048004E 00024723
	v_bfe_u32 v228, v35, 16, 1                                 // 00000000B3E0: D1C800E4 02052123
	v_add3_u32 v228, v35, v228, v231                           // 00000000B3E8: D1FF00E4 079FC923
	v_cndmask_b32_e64 v33, v228, v230, s[78:79]                // 00000000B3F0: D1000021 013BCDE4
	v_and_or_b32 v185, v33, v229, v32                          // 00000000B3F8: D20100B9 0483CB21
	v_mov_b32_e32 v34, v192                                    // 00000000B400: 7E4403C0
	v_mov_b32_e32 v35, v193                                    // 00000000B404: 7E4603C1
	v_cmp_u_f32_e64 s[78:79], v34, v34                         // 00000000B408: D048004E 00024522
	v_bfe_u32 v228, v34, 16, 1                                 // 00000000B410: D1C800E4 02052122
	v_add3_u32 v228, v34, v228, v231                           // 00000000B418: D1FF00E4 079FC922
	v_cndmask_b32_e64 v32, v228, v230, s[78:79]                // 00000000B420: D1000020 013BCDE4
	v_lshrrev_b32_e32 v32, 16, v32                             // 00000000B428: 20404090
	v_cmp_u_f32_e64 s[78:79], v35, v35                         // 00000000B42C: D048004E 00024723
	v_bfe_u32 v228, v35, 16, 1                                 // 00000000B434: D1C800E4 02052123
	v_add3_u32 v228, v35, v228, v231                           // 00000000B43C: D1FF00E4 079FC923
	v_cndmask_b32_e64 v33, v228, v230, s[78:79]                // 00000000B444: D1000021 013BCDE4
	v_and_or_b32 v186, v33, v229, v32                          // 00000000B44C: D20100BA 0483CB21
	v_mov_b32_e32 v34, v194                                    // 00000000B454: 7E4403C2
	v_mov_b32_e32 v35, v195                                    // 00000000B458: 7E4603C3
	v_cmp_u_f32_e64 s[78:79], v34, v34                         // 00000000B45C: D048004E 00024522
	v_bfe_u32 v228, v34, 16, 1                                 // 00000000B464: D1C800E4 02052122
	v_add3_u32 v228, v34, v228, v231                           // 00000000B46C: D1FF00E4 079FC922
	v_cndmask_b32_e64 v32, v228, v230, s[78:79]                // 00000000B474: D1000020 013BCDE4
	v_lshrrev_b32_e32 v32, 16, v32                             // 00000000B47C: 20404090
	v_cmp_u_f32_e64 s[78:79], v35, v35                         // 00000000B480: D048004E 00024723
	v_bfe_u32 v228, v35, 16, 1                                 // 00000000B488: D1C800E4 02052123
	v_add3_u32 v228, v35, v228, v231                           // 00000000B490: D1FF00E4 079FC923
	v_cndmask_b32_e64 v33, v228, v230, s[78:79]                // 00000000B498: D1000021 013BCDE4
	v_and_or_b32 v187, v33, v229, v32                          // 00000000B4A0: D20100BB 0483CB21
	ds_write_b64 v27, v[180:181]                               // 00000000B4A8: D89A0000 0000B41B
	ds_write_b64 v27, v[182:183] offset:544                    // 00000000B4B0: D89A0220 0000B61B
	ds_write_b64 v27, v[184:185] offset:1088                   // 00000000B4B8: D89A0440 0000B81B
	ds_write_b64 v27, v[186:187] offset:1632                   // 00000000B4C0: D89A0660 0000BA1B
	s_waitcnt lgkmcnt(0)                                       // 00000000B4C8: BF8CC07F
	s_barrier                                                  // 00000000B4CC: BF8A0000
	ds_read_b64 v[180:181], v26                                // 00000000B4D0: D8EC0000 B400001A
	ds_read_b64 v[182:183], v26 offset:128                     // 00000000B4D8: D8EC0080 B600001A
	ds_read_b64 v[184:185], v26 offset:64                      // 00000000B4E0: D8EC0040 B800001A
	ds_read_b64 v[186:187], v26 offset:192                     // 00000000B4E8: D8EC00C0 BA00001A
	s_waitcnt lgkmcnt(0)                                       // 00000000B4F0: BF8CC07F
	s_mov_b32 s70, s53                                         // 00000000B4F4: BEC60035
	buffer_store_dwordx4 v[180:183], v10, s[40:43], 0 idxen    // 00000000B4F8: E07C2000 800AB40A
	s_mul_i32 s60, 2, s70                                      // 00000000B500: 923C4682
	v_add_u32_e32 v10, s60, v10                                // 00000000B504: 6814143C
	buffer_store_dwordx4 v[184:187], v10, s[40:43], 0 idxen    // 00000000B508: E07C2000 800AB80A
	s_mul_i32 s60, 2, s70                                      // 00000000B510: 923C4682
	v_add_u32_e32 v10, s60, v10                                // 00000000B514: 6814143C
	s_mul_i32 s60, 12, s70                                     // 00000000B518: 923C468C
	v_add_u32_e32 v10, s60, v10                                // 00000000B51C: 6814143C
	s_cmp_ge_i32 1, s72                                        // 00000000B520: BF034881
	s_cbranch_scc1 label_1F7E                                  // 00000000B524: BF850190
	v_mov_b32_e32 v34, v196                                    // 00000000B528: 7E4403C4
	v_mov_b32_e32 v35, v197                                    // 00000000B52C: 7E4603C5
	v_cmp_u_f32_e64 s[78:79], v34, v34                         // 00000000B530: D048004E 00024522
	v_bfe_u32 v228, v34, 16, 1                                 // 00000000B538: D1C800E4 02052122
	v_add3_u32 v228, v34, v228, v231                           // 00000000B540: D1FF00E4 079FC922
	v_cndmask_b32_e64 v32, v228, v230, s[78:79]                // 00000000B548: D1000020 013BCDE4
	v_lshrrev_b32_e32 v32, 16, v32                             // 00000000B550: 20404090
	v_cmp_u_f32_e64 s[78:79], v35, v35                         // 00000000B554: D048004E 00024723
	v_bfe_u32 v228, v35, 16, 1                                 // 00000000B55C: D1C800E4 02052123
	v_add3_u32 v228, v35, v228, v231                           // 00000000B564: D1FF00E4 079FC923
	v_cndmask_b32_e64 v33, v228, v230, s[78:79]                // 00000000B56C: D1000021 013BCDE4
	v_and_or_b32 v188, v33, v229, v32                          // 00000000B574: D20100BC 0483CB21
	v_mov_b32_e32 v34, v198                                    // 00000000B57C: 7E4403C6
	v_mov_b32_e32 v35, v199                                    // 00000000B580: 7E4603C7
	v_cmp_u_f32_e64 s[78:79], v34, v34                         // 00000000B584: D048004E 00024522
	v_bfe_u32 v228, v34, 16, 1                                 // 00000000B58C: D1C800E4 02052122
	v_add3_u32 v228, v34, v228, v231                           // 00000000B594: D1FF00E4 079FC922
	v_cndmask_b32_e64 v32, v228, v230, s[78:79]                // 00000000B59C: D1000020 013BCDE4
	v_lshrrev_b32_e32 v32, 16, v32                             // 00000000B5A4: 20404090
	v_cmp_u_f32_e64 s[78:79], v35, v35                         // 00000000B5A8: D048004E 00024723
	v_bfe_u32 v228, v35, 16, 1                                 // 00000000B5B0: D1C800E4 02052123
	v_add3_u32 v228, v35, v228, v231                           // 00000000B5B8: D1FF00E4 079FC923
	v_cndmask_b32_e64 v33, v228, v230, s[78:79]                // 00000000B5C0: D1000021 013BCDE4
	v_and_or_b32 v189, v33, v229, v32                          // 00000000B5C8: D20100BD 0483CB21
	v_mov_b32_e32 v34, v200                                    // 00000000B5D0: 7E4403C8
	v_mov_b32_e32 v35, v201                                    // 00000000B5D4: 7E4603C9
	v_cmp_u_f32_e64 s[78:79], v34, v34                         // 00000000B5D8: D048004E 00024522
	v_bfe_u32 v228, v34, 16, 1                                 // 00000000B5E0: D1C800E4 02052122
	v_add3_u32 v228, v34, v228, v231                           // 00000000B5E8: D1FF00E4 079FC922
	v_cndmask_b32_e64 v32, v228, v230, s[78:79]                // 00000000B5F0: D1000020 013BCDE4
	v_lshrrev_b32_e32 v32, 16, v32                             // 00000000B5F8: 20404090
	v_cmp_u_f32_e64 s[78:79], v35, v35                         // 00000000B5FC: D048004E 00024723
	v_bfe_u32 v228, v35, 16, 1                                 // 00000000B604: D1C800E4 02052123
	v_add3_u32 v228, v35, v228, v231                           // 00000000B60C: D1FF00E4 079FC923
	v_cndmask_b32_e64 v33, v228, v230, s[78:79]                // 00000000B614: D1000021 013BCDE4
	v_and_or_b32 v190, v33, v229, v32                          // 00000000B61C: D20100BE 0483CB21
	v_mov_b32_e32 v34, v202                                    // 00000000B624: 7E4403CA
	v_mov_b32_e32 v35, v203                                    // 00000000B628: 7E4603CB
	v_cmp_u_f32_e64 s[78:79], v34, v34                         // 00000000B62C: D048004E 00024522
	v_bfe_u32 v228, v34, 16, 1                                 // 00000000B634: D1C800E4 02052122
	v_add3_u32 v228, v34, v228, v231                           // 00000000B63C: D1FF00E4 079FC922
	v_cndmask_b32_e64 v32, v228, v230, s[78:79]                // 00000000B644: D1000020 013BCDE4
	v_lshrrev_b32_e32 v32, 16, v32                             // 00000000B64C: 20404090
	v_cmp_u_f32_e64 s[78:79], v35, v35                         // 00000000B650: D048004E 00024723
	v_bfe_u32 v228, v35, 16, 1                                 // 00000000B658: D1C800E4 02052123
	v_add3_u32 v228, v35, v228, v231                           // 00000000B660: D1FF00E4 079FC923
	v_cndmask_b32_e64 v33, v228, v230, s[78:79]                // 00000000B668: D1000021 013BCDE4
	v_and_or_b32 v191, v33, v229, v32                          // 00000000B670: D20100BF 0483CB21
	v_mov_b32_e32 v34, v204                                    // 00000000B678: 7E4403CC
	v_mov_b32_e32 v35, v205                                    // 00000000B67C: 7E4603CD
	v_cmp_u_f32_e64 s[78:79], v34, v34                         // 00000000B680: D048004E 00024522
	v_bfe_u32 v228, v34, 16, 1                                 // 00000000B688: D1C800E4 02052122
	v_add3_u32 v228, v34, v228, v231                           // 00000000B690: D1FF00E4 079FC922
	v_cndmask_b32_e64 v32, v228, v230, s[78:79]                // 00000000B698: D1000020 013BCDE4
	v_lshrrev_b32_e32 v32, 16, v32                             // 00000000B6A0: 20404090
	v_cmp_u_f32_e64 s[78:79], v35, v35                         // 00000000B6A4: D048004E 00024723
	v_bfe_u32 v228, v35, 16, 1                                 // 00000000B6AC: D1C800E4 02052123
	v_add3_u32 v228, v35, v228, v231                           // 00000000B6B4: D1FF00E4 079FC923
	v_cndmask_b32_e64 v33, v228, v230, s[78:79]                // 00000000B6BC: D1000021 013BCDE4
	v_and_or_b32 v192, v33, v229, v32                          // 00000000B6C4: D20100C0 0483CB21
	v_mov_b32_e32 v34, v206                                    // 00000000B6CC: 7E4403CE
	v_mov_b32_e32 v35, v207                                    // 00000000B6D0: 7E4603CF
	v_cmp_u_f32_e64 s[78:79], v34, v34                         // 00000000B6D4: D048004E 00024522
	v_bfe_u32 v228, v34, 16, 1                                 // 00000000B6DC: D1C800E4 02052122
	v_add3_u32 v228, v34, v228, v231                           // 00000000B6E4: D1FF00E4 079FC922
	v_cndmask_b32_e64 v32, v228, v230, s[78:79]                // 00000000B6EC: D1000020 013BCDE4
	v_lshrrev_b32_e32 v32, 16, v32                             // 00000000B6F4: 20404090
	v_cmp_u_f32_e64 s[78:79], v35, v35                         // 00000000B6F8: D048004E 00024723
	v_bfe_u32 v228, v35, 16, 1                                 // 00000000B700: D1C800E4 02052123
	v_add3_u32 v228, v35, v228, v231                           // 00000000B708: D1FF00E4 079FC923
	v_cndmask_b32_e64 v33, v228, v230, s[78:79]                // 00000000B710: D1000021 013BCDE4
	v_and_or_b32 v193, v33, v229, v32                          // 00000000B718: D20100C1 0483CB21
	v_mov_b32_e32 v34, v208                                    // 00000000B720: 7E4403D0
	v_mov_b32_e32 v35, v209                                    // 00000000B724: 7E4603D1
	v_cmp_u_f32_e64 s[78:79], v34, v34                         // 00000000B728: D048004E 00024522
	v_bfe_u32 v228, v34, 16, 1                                 // 00000000B730: D1C800E4 02052122
	v_add3_u32 v228, v34, v228, v231                           // 00000000B738: D1FF00E4 079FC922
	v_cndmask_b32_e64 v32, v228, v230, s[78:79]                // 00000000B740: D1000020 013BCDE4
	v_lshrrev_b32_e32 v32, 16, v32                             // 00000000B748: 20404090
	v_cmp_u_f32_e64 s[78:79], v35, v35                         // 00000000B74C: D048004E 00024723
	v_bfe_u32 v228, v35, 16, 1                                 // 00000000B754: D1C800E4 02052123
	v_add3_u32 v228, v35, v228, v231                           // 00000000B75C: D1FF00E4 079FC923
	v_cndmask_b32_e64 v33, v228, v230, s[78:79]                // 00000000B764: D1000021 013BCDE4
	v_and_or_b32 v194, v33, v229, v32                          // 00000000B76C: D20100C2 0483CB21
	v_mov_b32_e32 v34, v210                                    // 00000000B774: 7E4403D2
	v_mov_b32_e32 v35, v211                                    // 00000000B778: 7E4603D3
	v_cmp_u_f32_e64 s[78:79], v34, v34                         // 00000000B77C: D048004E 00024522
	v_bfe_u32 v228, v34, 16, 1                                 // 00000000B784: D1C800E4 02052122
	v_add3_u32 v228, v34, v228, v231                           // 00000000B78C: D1FF00E4 079FC922
	v_cndmask_b32_e64 v32, v228, v230, s[78:79]                // 00000000B794: D1000020 013BCDE4
	v_lshrrev_b32_e32 v32, 16, v32                             // 00000000B79C: 20404090
	v_cmp_u_f32_e64 s[78:79], v35, v35                         // 00000000B7A0: D048004E 00024723
	v_bfe_u32 v228, v35, 16, 1                                 // 00000000B7A8: D1C800E4 02052123
	v_add3_u32 v228, v35, v228, v231                           // 00000000B7B0: D1FF00E4 079FC923
	v_cndmask_b32_e64 v33, v228, v230, s[78:79]                // 00000000B7B8: D1000021 013BCDE4
	v_and_or_b32 v195, v33, v229, v32                          // 00000000B7C0: D20100C3 0483CB21
	ds_write_b64 v27, v[188:189] offset:8704                   // 00000000B7C8: D89A2200 0000BC1B
	ds_write_b64 v27, v[190:191] offset:9248                   // 00000000B7D0: D89A2420 0000BE1B
	ds_write_b64 v27, v[192:193] offset:9792                   // 00000000B7D8: D89A2640 0000C01B
	ds_write_b64 v27, v[194:195] offset:10336                  // 00000000B7E0: D89A2860 0000C21B
	s_waitcnt lgkmcnt(0)                                       // 00000000B7E8: BF8CC07F
	s_barrier                                                  // 00000000B7EC: BF8A0000
	ds_read_b64 v[188:189], v26 offset:8704                    // 00000000B7F0: D8EC2200 BC00001A
	ds_read_b64 v[190:191], v26 offset:8832                    // 00000000B7F8: D8EC2280 BE00001A
	ds_read_b64 v[192:193], v26 offset:8768                    // 00000000B800: D8EC2240 C000001A
	ds_read_b64 v[194:195], v26 offset:8896                    // 00000000B808: D8EC22C0 C200001A
	s_waitcnt lgkmcnt(0)                                       // 00000000B810: BF8CC07F
	s_mov_b32 s70, s53                                         // 00000000B814: BEC60035
	buffer_store_dwordx4 v[188:191], v10, s[40:43], 0 idxen    // 00000000B818: E07C2000 800ABC0A
	s_mul_i32 s60, 2, s70                                      // 00000000B820: 923C4682
	v_add_u32_e32 v10, s60, v10                                // 00000000B824: 6814143C
	buffer_store_dwordx4 v[192:195], v10, s[40:43], 0 idxen    // 00000000B828: E07C2000 800AC00A
	s_mul_i32 s60, 2, s70                                      // 00000000B830: 923C4682
	v_add_u32_e32 v10, s60, v10                                // 00000000B834: 6814143C
	s_mul_i32 s60, 12, s70                                     // 00000000B838: 923C468C
	v_add_u32_e32 v10, s60, v10                                // 00000000B83C: 6814143C
	s_cmp_ge_i32 2, s72                                        // 00000000B840: BF034882
	s_cbranch_scc1 label_1F7E                                  // 00000000B844: BF8500C8
	v_mov_b32_e32 v34, v212                                    // 00000000B848: 7E4403D4
	v_mov_b32_e32 v35, v213                                    // 00000000B84C: 7E4603D5
	v_cmp_u_f32_e64 s[78:79], v34, v34                         // 00000000B850: D048004E 00024522
	v_bfe_u32 v228, v34, 16, 1                                 // 00000000B858: D1C800E4 02052122
	v_add3_u32 v228, v34, v228, v231                           // 00000000B860: D1FF00E4 079FC922
	v_cndmask_b32_e64 v32, v228, v230, s[78:79]                // 00000000B868: D1000020 013BCDE4
	v_lshrrev_b32_e32 v32, 16, v32                             // 00000000B870: 20404090
	v_cmp_u_f32_e64 s[78:79], v35, v35                         // 00000000B874: D048004E 00024723
	v_bfe_u32 v228, v35, 16, 1                                 // 00000000B87C: D1C800E4 02052123
	v_add3_u32 v228, v35, v228, v231                           // 00000000B884: D1FF00E4 079FC923
	v_cndmask_b32_e64 v33, v228, v230, s[78:79]                // 00000000B88C: D1000021 013BCDE4
	v_and_or_b32 v196, v33, v229, v32                          // 00000000B894: D20100C4 0483CB21
	v_mov_b32_e32 v34, v214                                    // 00000000B89C: 7E4403D6
	v_mov_b32_e32 v35, v215                                    // 00000000B8A0: 7E4603D7
	v_cmp_u_f32_e64 s[78:79], v34, v34                         // 00000000B8A4: D048004E 00024522
	v_bfe_u32 v228, v34, 16, 1                                 // 00000000B8AC: D1C800E4 02052122
	v_add3_u32 v228, v34, v228, v231                           // 00000000B8B4: D1FF00E4 079FC922
	v_cndmask_b32_e64 v32, v228, v230, s[78:79]                // 00000000B8BC: D1000020 013BCDE4
	v_lshrrev_b32_e32 v32, 16, v32                             // 00000000B8C4: 20404090
	v_cmp_u_f32_e64 s[78:79], v35, v35                         // 00000000B8C8: D048004E 00024723
	v_bfe_u32 v228, v35, 16, 1                                 // 00000000B8D0: D1C800E4 02052123
	v_add3_u32 v228, v35, v228, v231                           // 00000000B8D8: D1FF00E4 079FC923
	v_cndmask_b32_e64 v33, v228, v230, s[78:79]                // 00000000B8E0: D1000021 013BCDE4
	v_and_or_b32 v197, v33, v229, v32                          // 00000000B8E8: D20100C5 0483CB21
	v_mov_b32_e32 v34, v216                                    // 00000000B8F0: 7E4403D8
	v_mov_b32_e32 v35, v217                                    // 00000000B8F4: 7E4603D9
	v_cmp_u_f32_e64 s[78:79], v34, v34                         // 00000000B8F8: D048004E 00024522
	v_bfe_u32 v228, v34, 16, 1                                 // 00000000B900: D1C800E4 02052122
	v_add3_u32 v228, v34, v228, v231                           // 00000000B908: D1FF00E4 079FC922
	v_cndmask_b32_e64 v32, v228, v230, s[78:79]                // 00000000B910: D1000020 013BCDE4
	v_lshrrev_b32_e32 v32, 16, v32                             // 00000000B918: 20404090
	v_cmp_u_f32_e64 s[78:79], v35, v35                         // 00000000B91C: D048004E 00024723
	v_bfe_u32 v228, v35, 16, 1                                 // 00000000B924: D1C800E4 02052123
	v_add3_u32 v228, v35, v228, v231                           // 00000000B92C: D1FF00E4 079FC923
	v_cndmask_b32_e64 v33, v228, v230, s[78:79]                // 00000000B934: D1000021 013BCDE4
	v_and_or_b32 v198, v33, v229, v32                          // 00000000B93C: D20100C6 0483CB21
	v_mov_b32_e32 v34, v218                                    // 00000000B944: 7E4403DA
	v_mov_b32_e32 v35, v219                                    // 00000000B948: 7E4603DB
	v_cmp_u_f32_e64 s[78:79], v34, v34                         // 00000000B94C: D048004E 00024522
	v_bfe_u32 v228, v34, 16, 1                                 // 00000000B954: D1C800E4 02052122
	v_add3_u32 v228, v34, v228, v231                           // 00000000B95C: D1FF00E4 079FC922
	v_cndmask_b32_e64 v32, v228, v230, s[78:79]                // 00000000B964: D1000020 013BCDE4
	v_lshrrev_b32_e32 v32, 16, v32                             // 00000000B96C: 20404090
	v_cmp_u_f32_e64 s[78:79], v35, v35                         // 00000000B970: D048004E 00024723
	v_bfe_u32 v228, v35, 16, 1                                 // 00000000B978: D1C800E4 02052123
	v_add3_u32 v228, v35, v228, v231                           // 00000000B980: D1FF00E4 079FC923
	v_cndmask_b32_e64 v33, v228, v230, s[78:79]                // 00000000B988: D1000021 013BCDE4
	v_and_or_b32 v199, v33, v229, v32                          // 00000000B990: D20100C7 0483CB21
	v_mov_b32_e32 v34, v220                                    // 00000000B998: 7E4403DC
	v_mov_b32_e32 v35, v221                                    // 00000000B99C: 7E4603DD
	v_cmp_u_f32_e64 s[78:79], v34, v34                         // 00000000B9A0: D048004E 00024522
	v_bfe_u32 v228, v34, 16, 1                                 // 00000000B9A8: D1C800E4 02052122
	v_add3_u32 v228, v34, v228, v231                           // 00000000B9B0: D1FF00E4 079FC922
	v_cndmask_b32_e64 v32, v228, v230, s[78:79]                // 00000000B9B8: D1000020 013BCDE4
	v_lshrrev_b32_e32 v32, 16, v32                             // 00000000B9C0: 20404090
	v_cmp_u_f32_e64 s[78:79], v35, v35                         // 00000000B9C4: D048004E 00024723
	v_bfe_u32 v228, v35, 16, 1                                 // 00000000B9CC: D1C800E4 02052123
	v_add3_u32 v228, v35, v228, v231                           // 00000000B9D4: D1FF00E4 079FC923
	v_cndmask_b32_e64 v33, v228, v230, s[78:79]                // 00000000B9DC: D1000021 013BCDE4
	v_and_or_b32 v200, v33, v229, v32                          // 00000000B9E4: D20100C8 0483CB21
	v_mov_b32_e32 v34, v222                                    // 00000000B9EC: 7E4403DE
	v_mov_b32_e32 v35, v223                                    // 00000000B9F0: 7E4603DF
	v_cmp_u_f32_e64 s[78:79], v34, v34                         // 00000000B9F4: D048004E 00024522
	v_bfe_u32 v228, v34, 16, 1                                 // 00000000B9FC: D1C800E4 02052122
	v_add3_u32 v228, v34, v228, v231                           // 00000000BA04: D1FF00E4 079FC922
	v_cndmask_b32_e64 v32, v228, v230, s[78:79]                // 00000000BA0C: D1000020 013BCDE4
	v_lshrrev_b32_e32 v32, 16, v32                             // 00000000BA14: 20404090
	v_cmp_u_f32_e64 s[78:79], v35, v35                         // 00000000BA18: D048004E 00024723
	v_bfe_u32 v228, v35, 16, 1                                 // 00000000BA20: D1C800E4 02052123
	v_add3_u32 v228, v35, v228, v231                           // 00000000BA28: D1FF00E4 079FC923
	v_cndmask_b32_e64 v33, v228, v230, s[78:79]                // 00000000BA30: D1000021 013BCDE4
	v_and_or_b32 v201, v33, v229, v32                          // 00000000BA38: D20100C9 0483CB21
	v_mov_b32_e32 v34, v224                                    // 00000000BA40: 7E4403E0
	v_mov_b32_e32 v35, v225                                    // 00000000BA44: 7E4603E1
	v_cmp_u_f32_e64 s[78:79], v34, v34                         // 00000000BA48: D048004E 00024522
	v_bfe_u32 v228, v34, 16, 1                                 // 00000000BA50: D1C800E4 02052122
	v_add3_u32 v228, v34, v228, v231                           // 00000000BA58: D1FF00E4 079FC922
	v_cndmask_b32_e64 v32, v228, v230, s[78:79]                // 00000000BA60: D1000020 013BCDE4
	v_lshrrev_b32_e32 v32, 16, v32                             // 00000000BA68: 20404090
	v_cmp_u_f32_e64 s[78:79], v35, v35                         // 00000000BA6C: D048004E 00024723
	v_bfe_u32 v228, v35, 16, 1                                 // 00000000BA74: D1C800E4 02052123
	v_add3_u32 v228, v35, v228, v231                           // 00000000BA7C: D1FF00E4 079FC923
	v_cndmask_b32_e64 v33, v228, v230, s[78:79]                // 00000000BA84: D1000021 013BCDE4
	v_and_or_b32 v202, v33, v229, v32                          // 00000000BA8C: D20100CA 0483CB21
	v_mov_b32_e32 v34, v226                                    // 00000000BA94: 7E4403E2
	v_mov_b32_e32 v35, v227                                    // 00000000BA98: 7E4603E3
	v_cmp_u_f32_e64 s[78:79], v34, v34                         // 00000000BA9C: D048004E 00024522
	v_bfe_u32 v228, v34, 16, 1                                 // 00000000BAA4: D1C800E4 02052122
	v_add3_u32 v228, v34, v228, v231                           // 00000000BAAC: D1FF00E4 079FC922
	v_cndmask_b32_e64 v32, v228, v230, s[78:79]                // 00000000BAB4: D1000020 013BCDE4
	v_lshrrev_b32_e32 v32, 16, v32                             // 00000000BABC: 20404090
	v_cmp_u_f32_e64 s[78:79], v35, v35                         // 00000000BAC0: D048004E 00024723
	v_bfe_u32 v228, v35, 16, 1                                 // 00000000BAC8: D1C800E4 02052123
	v_add3_u32 v228, v35, v228, v231                           // 00000000BAD0: D1FF00E4 079FC923
	v_cndmask_b32_e64 v33, v228, v230, s[78:79]                // 00000000BAD8: D1000021 013BCDE4
	v_and_or_b32 v203, v33, v229, v32                          // 00000000BAE0: D20100CB 0483CB21
	ds_write_b64 v27, v[196:197] offset:17408                  // 00000000BAE8: D89A4400 0000C41B
	ds_write_b64 v27, v[198:199] offset:17952                  // 00000000BAF0: D89A4620 0000C61B
	ds_write_b64 v27, v[200:201] offset:18496                  // 00000000BAF8: D89A4840 0000C81B
	ds_write_b64 v27, v[202:203] offset:19040                  // 00000000BB00: D89A4A60 0000CA1B
	s_waitcnt lgkmcnt(0)                                       // 00000000BB08: BF8CC07F
	s_barrier                                                  // 00000000BB0C: BF8A0000
	ds_read_b64 v[196:197], v26 offset:17408                   // 00000000BB10: D8EC4400 C400001A
	ds_read_b64 v[198:199], v26 offset:17536                   // 00000000BB18: D8EC4480 C600001A
	ds_read_b64 v[200:201], v26 offset:17472                   // 00000000BB20: D8EC4440 C800001A
	ds_read_b64 v[202:203], v26 offset:17600                   // 00000000BB28: D8EC44C0 CA00001A
	s_waitcnt lgkmcnt(0)                                       // 00000000BB30: BF8CC07F
	s_mov_b32 s70, s53                                         // 00000000BB34: BEC60035
	buffer_store_dwordx4 v[196:199], v10, s[40:43], 0 idxen    // 00000000BB38: E07C2000 800AC40A
	s_mul_i32 s60, 2, s70                                      // 00000000BB40: 923C4682
	v_add_u32_e32 v10, s60, v10                                // 00000000BB44: 6814143C
	buffer_store_dwordx4 v[200:203], v10, s[40:43], 0 idxen    // 00000000BB48: E07C2000 800AC80A
	s_mul_i32 s60, 2, s70                                      // 00000000BB50: 923C4682
	v_add_u32_e32 v10, s60, v10                                // 00000000BB54: 6814143C
	s_mul_i32 s60, 12, s70                                     // 00000000BB58: 923C468C
	v_add_u32_e32 v10, s60, v10                                // 00000000BB5C: 6814143C
	s_cmp_ge_i32 3, s72                                        // 00000000BB60: BF034883
	s_cbranch_scc1 label_1F7E                                  // 00000000BB64: BF850000

000000000000bb68 <label_1F7E>:
	s_waitcnt vmcnt(0) expcnt(0) lgkmcnt(0)                    // 00000000BB68: BF8C0000
	s_sub_i32 s60, s77, 1                                      // 00000000BB6C: 81BC814D
	s_sub_i32 s2, s60, s2                                      // 00000000BB70: 8182023C
	s_addk_i32 s75, 0x1                                        // 00000000BB74: B74B0001
	s_cmp_lt_i32 s75, s76                                      // 00000000BB78: BF044C4B
	s_cbranch_scc1 label_0153                                  // 00000000BB7C: BF85E1F3
	s_endpgm                                                   // 00000000BB80: BF810000
